;; amdgpu-corpus repo=ROCm/rocFFT kind=compiled arch=gfx906 opt=O3
	.text
	.amdgcn_target "amdgcn-amd-amdhsa--gfx906"
	.amdhsa_code_object_version 6
	.protected	bluestein_single_fwd_len1377_dim1_sp_op_CI_CI ; -- Begin function bluestein_single_fwd_len1377_dim1_sp_op_CI_CI
	.globl	bluestein_single_fwd_len1377_dim1_sp_op_CI_CI
	.p2align	8
	.type	bluestein_single_fwd_len1377_dim1_sp_op_CI_CI,@function
bluestein_single_fwd_len1377_dim1_sp_op_CI_CI: ; @bluestein_single_fwd_len1377_dim1_sp_op_CI_CI
; %bb.0:
	s_load_dwordx4 s[8:11], s[4:5], 0x28
	s_mov_b64 s[26:27], s[2:3]
	v_mul_u32_u24_e32 v1, 0x506, v0
	s_mov_b64 s[24:25], s[0:1]
	v_add_u32_sdwa v4, s6, v1 dst_sel:DWORD dst_unused:UNUSED_PAD src0_sel:DWORD src1_sel:WORD_1
	v_mov_b32_e32 v5, 0
	s_add_u32 s24, s24, s7
	s_waitcnt lgkmcnt(0)
	v_cmp_gt_u64_e32 vcc, s[8:9], v[4:5]
	s_addc_u32 s25, s25, 0
	s_and_saveexec_b64 s[0:1], vcc
	s_cbranch_execz .LBB0_15
; %bb.1:
	s_load_dwordx4 s[0:3], s[4:5], 0x18
	s_load_dwordx2 s[16:17], s[4:5], 0x0
	v_mov_b32_e32 v2, 51
	v_mul_lo_u16_sdwa v1, v1, v2 dst_sel:DWORD dst_unused:UNUSED_PAD src0_sel:WORD_1 src1_sel:DWORD
	v_sub_u16_e32 v207, v0, v1
	s_waitcnt lgkmcnt(0)
	s_load_dwordx4 s[12:15], s[0:1], 0x0
	v_mov_b32_e32 v5, v4
	buffer_store_dword v5, off, s[24:27], 0 offset:112 ; 4-byte Folded Spill
	s_nop 0
	buffer_store_dword v6, off, s[24:27], 0 offset:116 ; 4-byte Folded Spill
	v_lshlrev_b32_e32 v213, 3, v207
	s_load_dwordx2 s[6:7], s[4:5], 0x38
	s_waitcnt lgkmcnt(0)
	v_mad_u64_u32 v[0:1], s[0:1], s14, v4, 0
	v_mad_u64_u32 v[2:3], s[0:1], s12, v207, 0
	;; [unrolled: 1-line block ×4, first 2 shown]
	v_mov_b32_e32 v1, v4
	v_lshlrev_b64 v[0:1], 3, v[0:1]
	v_mov_b32_e32 v6, s11
	v_mov_b32_e32 v3, v5
	v_add_co_u32_e32 v4, vcc, s10, v0
	v_addc_co_u32_e32 v5, vcc, v6, v1, vcc
	v_lshlrev_b64 v[0:1], 3, v[2:3]
	s_mul_i32 s0, s13, 0x51
	v_add_co_u32_e32 v0, vcc, v4, v0
	v_addc_co_u32_e32 v1, vcc, v5, v1, vcc
	s_mul_hi_u32 s1, s12, 0x51
	v_mov_b32_e32 v2, s17
	v_add_co_u32_e32 v208, vcc, s16, v213
	s_add_i32 s1, s1, s0
	s_mul_i32 s0, s12, 0x51
	v_addc_co_u32_e32 v209, vcc, 0, v2, vcc
	s_lshl_b64 s[14:15], s[0:1], 3
	v_mov_b32_e32 v38, s15
	v_add_co_u32_e32 v2, vcc, s14, v0
	v_addc_co_u32_e32 v3, vcc, v1, v38, vcc
	v_add_co_u32_e32 v4, vcc, s14, v2
	v_addc_co_u32_e32 v5, vcc, v3, v38, vcc
	;; [unrolled: 2-line block ×3, first 2 shown]
	global_load_dwordx2 v[8:9], v[0:1], off
	global_load_dwordx2 v[10:11], v[2:3], off
	global_load_dwordx2 v[12:13], v[4:5], off
	global_load_dwordx2 v[14:15], v[6:7], off
	global_load_dwordx2 v[68:69], v213, s[16:17]
	global_load_dwordx2 v[66:67], v213, s[16:17] offset:648
	global_load_dwordx2 v[64:65], v213, s[16:17] offset:1296
	;; [unrolled: 1-line block ×3, first 2 shown]
	v_add_co_u32_e32 v0, vcc, s14, v6
	v_addc_co_u32_e32 v1, vcc, v7, v38, vcc
	global_load_dwordx2 v[6:7], v[0:1], off
	v_add_co_u32_e32 v0, vcc, s14, v0
	v_addc_co_u32_e32 v1, vcc, v1, v38, vcc
	global_load_dwordx2 v[16:17], v[0:1], off
	v_add_co_u32_e32 v0, vcc, s14, v0
	v_addc_co_u32_e32 v1, vcc, v1, v38, vcc
	v_add_co_u32_e32 v2, vcc, s14, v0
	v_addc_co_u32_e32 v3, vcc, v1, v38, vcc
	s_movk_i32 s0, 0x1000
	global_load_dwordx2 v[18:19], v[0:1], off
	global_load_dwordx2 v[62:63], v213, s[16:17] offset:2592
	global_load_dwordx2 v[58:59], v213, s[16:17] offset:3240
	;; [unrolled: 1-line block ×3, first 2 shown]
	v_add_co_u32_e32 v0, vcc, s0, v208
	v_addc_co_u32_e32 v1, vcc, 0, v209, vcc
	global_load_dwordx2 v[20:21], v[2:3], off
	v_add_co_u32_e32 v2, vcc, s14, v2
	v_addc_co_u32_e32 v3, vcc, v3, v38, vcc
	global_load_dwordx2 v[22:23], v[2:3], off
	;; [unrolled: 3-line block ×3, first 2 shown]
	v_add_co_u32_e32 v2, vcc, s14, v2
	v_addc_co_u32_e32 v3, vcc, v3, v38, vcc
	global_load_dwordx2 v[52:53], v[0:1], off offset:440
	global_load_dwordx2 v[26:27], v[2:3], off
	global_load_dwordx2 v[56:57], v[0:1], off offset:1088
	global_load_dwordx2 v[50:51], v[0:1], off offset:1736
	global_load_dwordx2 v[46:47], v[0:1], off offset:2384
	v_add_co_u32_e32 v2, vcc, s14, v2
	v_addc_co_u32_e32 v3, vcc, v3, v38, vcc
	global_load_dwordx2 v[28:29], v[2:3], off
	v_add_co_u32_e32 v2, vcc, s14, v2
	v_addc_co_u32_e32 v3, vcc, v3, v38, vcc
	v_add_co_u32_e32 v4, vcc, s14, v2
	v_addc_co_u32_e32 v5, vcc, v3, v38, vcc
	s_movk_i32 s0, 0x2000
	global_load_dwordx2 v[30:31], v[2:3], off
	global_load_dwordx2 v[48:49], v[0:1], off offset:3032
	global_load_dwordx2 v[44:45], v[0:1], off offset:3680
	v_add_co_u32_e32 v2, vcc, s0, v208
	v_addc_co_u32_e32 v3, vcc, 0, v209, vcc
	global_load_dwordx2 v[32:33], v[4:5], off
	v_add_co_u32_e32 v4, vcc, s14, v4
	v_addc_co_u32_e32 v5, vcc, v5, v38, vcc
	global_load_dwordx2 v[247:248], v[2:3], off offset:232
	global_load_dwordx2 v[34:35], v[4:5], off
	global_load_dwordx2 v[245:246], v[2:3], off offset:880
	v_add_co_u32_e32 v4, vcc, s14, v4
	v_addc_co_u32_e32 v5, vcc, v5, v38, vcc
	global_load_dwordx2 v[36:37], v[4:5], off
	global_load_dwordx2 v[243:244], v[2:3], off offset:1528
	v_add_co_u32_e32 v4, vcc, s14, v4
	v_addc_co_u32_e32 v5, vcc, v5, v38, vcc
	s_waitcnt vmcnt(27)
	v_mul_f32_e32 v40, v9, v69
	global_load_dwordx2 v[38:39], v[4:5], off
	global_load_dwordx2 v[42:43], v[2:3], off offset:2176
	s_load_dwordx4 s[8:11], s[2:3], 0x0
	v_fmac_f32_e32 v40, v8, v68
	v_mul_f32_e32 v8, v8, v69
	buffer_store_dword v68, off, s[24:27], 0 offset:144 ; 4-byte Folded Spill
	s_nop 0
	buffer_store_dword v69, off, s[24:27], 0 offset:148 ; 4-byte Folded Spill
	v_cmp_gt_u16_e64 s[0:1], 30, v207
	v_fma_f32 v41, v9, v68, -v8
	s_waitcnt vmcnt(30)
	v_mul_f32_e32 v8, v11, v67
	v_fmac_f32_e32 v8, v10, v66
	v_mul_f32_e32 v9, v10, v67
	buffer_store_dword v66, off, s[24:27], 0 offset:136 ; 4-byte Folded Spill
	s_nop 0
	buffer_store_dword v67, off, s[24:27], 0 offset:140 ; 4-byte Folded Spill
	s_waitcnt vmcnt(30)
	v_mul_f32_e32 v10, v15, v61
	v_fmac_f32_e32 v10, v14, v60
	v_fma_f32 v9, v11, v66, -v9
	ds_write2_b64 v213, v[40:41], v[8:9] offset1:81
	v_mul_f32_e32 v8, v13, v65
	v_fmac_f32_e32 v8, v12, v64
	v_mul_f32_e32 v9, v12, v65
	buffer_store_dword v64, off, s[24:27], 0 offset:128 ; 4-byte Folded Spill
	s_nop 0
	buffer_store_dword v65, off, s[24:27], 0 offset:132 ; 4-byte Folded Spill
	v_mul_f32_e32 v11, v14, v61
	buffer_store_dword v60, off, s[24:27], 0 offset:104 ; 4-byte Folded Spill
	s_nop 0
	buffer_store_dword v61, off, s[24:27], 0 offset:108 ; 4-byte Folded Spill
	v_fma_f32 v9, v13, v64, -v9
	v_fma_f32 v11, v15, v60, -v11
	ds_write2_b64 v213, v[8:9], v[10:11] offset0:162 offset1:243
	s_waitcnt vmcnt(30)
	v_mul_f32_e32 v8, v7, v63
	v_fmac_f32_e32 v8, v6, v62
	v_mul_f32_e32 v6, v6, v63
	buffer_store_dword v62, off, s[24:27], 0 offset:120 ; 4-byte Folded Spill
	s_nop 0
	buffer_store_dword v63, off, s[24:27], 0 offset:124 ; 4-byte Folded Spill
	s_waitcnt vmcnt(31)
	v_mul_f32_e32 v10, v17, v59
	v_fmac_f32_e32 v10, v16, v58
	v_fma_f32 v9, v7, v62, -v6
	v_mul_f32_e32 v6, v16, v59
	buffer_store_dword v58, off, s[24:27], 0 offset:96 ; 4-byte Folded Spill
	s_nop 0
	buffer_store_dword v59, off, s[24:27], 0 offset:100 ; 4-byte Folded Spill
	s_waitcnt vmcnt(32)
	v_mul_f32_e32 v7, v18, v55
	v_fma_f32 v11, v17, v58, -v6
	v_add_u32_e32 v6, 0x800, v213
	ds_write2_b64 v6, v[8:9], v[10:11] offset0:68 offset1:149
	v_mul_f32_e32 v8, v19, v55
	v_fmac_f32_e32 v8, v18, v54
	buffer_store_dword v54, off, s[24:27], 0 offset:80 ; 4-byte Folded Spill
	s_nop 0
	buffer_store_dword v55, off, s[24:27], 0 offset:84 ; 4-byte Folded Spill
	s_waitcnt vmcnt(30)
	v_mul_f32_e32 v10, v21, v53
	v_fmac_f32_e32 v10, v20, v52
	v_fma_f32 v9, v19, v54, -v7
	v_mul_f32_e32 v7, v20, v53
	buffer_store_dword v52, off, s[24:27], 0 offset:72 ; 4-byte Folded Spill
	s_nop 0
	buffer_store_dword v53, off, s[24:27], 0 offset:76 ; 4-byte Folded Spill
	v_fma_f32 v11, v21, v52, -v7
	v_add_u32_e32 v7, 0xc00, v213
	ds_write2_b64 v7, v[8:9], v[10:11] offset0:102 offset1:183
	s_waitcnt vmcnt(30)
	v_mul_f32_e32 v9, v23, v57
	v_fmac_f32_e32 v9, v22, v56
	v_mul_f32_e32 v8, v22, v57
	buffer_store_dword v56, off, s[24:27], 0 offset:88 ; 4-byte Folded Spill
	s_nop 0
	buffer_store_dword v57, off, s[24:27], 0 offset:92 ; 4-byte Folded Spill
	s_waitcnt vmcnt(31)
	v_mul_f32_e32 v11, v25, v51
	v_fmac_f32_e32 v11, v24, v50
	v_fma_f32 v10, v23, v56, -v8
	v_mul_f32_e32 v8, v24, v51
	buffer_store_dword v50, off, s[24:27], 0 offset:64 ; 4-byte Folded Spill
	s_nop 0
	buffer_store_dword v51, off, s[24:27], 0 offset:68 ; 4-byte Folded Spill
	v_fma_f32 v12, v25, v50, -v8
	v_add_u32_e32 v8, 0x1000, v213
	ds_write2_b64 v8, v[9:10], v[11:12] offset0:136 offset1:217
	s_waitcnt vmcnt(32)
	v_mul_f32_e32 v10, v27, v47
	v_fmac_f32_e32 v10, v26, v46
	v_mul_f32_e32 v9, v26, v47
	;; [unrolled: 18-line block ×3, first 2 shown]
	buffer_store_dword v44, off, s[24:27], 0 offset:40 ; 4-byte Folded Spill
	s_nop 0
	buffer_store_dword v45, off, s[24:27], 0 offset:44 ; 4-byte Folded Spill
	s_waitcnt vmcnt(32)
	v_mul_f32_e32 v13, v33, v248
	v_mul_f32_e32 v12, v32, v248
	v_fmac_f32_e32 v13, v32, v247
	v_fma_f32 v14, v33, v247, -v12
	v_add_u32_e32 v12, 0x1c00, v213
	v_fma_f32 v11, v31, v44, -v11
	ds_write2_b64 v12, v[10:11], v[13:14] offset0:76 offset1:157
	s_waitcnt vmcnt(30)
	v_mul_f32_e32 v10, v35, v246
	v_mul_f32_e32 v11, v34, v246
	s_waitcnt vmcnt(28)
	v_mul_f32_e32 v14, v37, v244
	v_mul_f32_e32 v13, v36, v244
	v_fmac_f32_e32 v10, v34, v245
	v_fma_f32 v11, v35, v245, -v11
	v_fmac_f32_e32 v14, v36, v243
	v_fma_f32 v15, v37, v243, -v13
	v_add_u32_e32 v13, 0x2000, v213
	ds_write2_b64 v13, v[10:11], v[14:15] offset0:110 offset1:191
	s_waitcnt vmcnt(26)
	v_mul_f32_e32 v10, v39, v43
	v_fmac_f32_e32 v10, v38, v42
	v_mul_f32_e32 v11, v38, v43
	buffer_store_dword v42, off, s[24:27], 0 offset:32 ; 4-byte Folded Spill
	s_nop 0
	buffer_store_dword v43, off, s[24:27], 0 offset:36 ; 4-byte Folded Spill
	v_fma_f32 v11, v39, v42, -v11
	ds_write_b64 v213, v[10:11] offset:10368
	s_and_saveexec_b64 s[2:3], s[0:1]
	s_cbranch_execz .LBB0_3
; %bb.2:
	v_mov_b32_e32 v10, 0xffffd918
	v_mad_u64_u32 v[4:5], s[18:19], s12, v10, v[4:5]
	s_mulk_i32 s13, 0xd918
	s_sub_i32 s12, s13, s12
	v_add_u32_e32 v5, s12, v5
	global_load_dwordx2 v[10:11], v[4:5], off
	v_mov_b32_e32 v74, s15
	v_add_co_u32_e32 v4, vcc, s14, v4
	v_addc_co_u32_e32 v5, vcc, v5, v74, vcc
	global_load_dwordx2 v[14:15], v[4:5], off
	v_add_co_u32_e32 v4, vcc, s14, v4
	v_addc_co_u32_e32 v5, vcc, v5, v74, vcc
	global_load_dwordx2 v[16:17], v[4:5], off
	v_add_co_u32_e32 v4, vcc, s14, v4
	v_addc_co_u32_e32 v5, vcc, v5, v74, vcc
	global_load_dwordx2 v[18:19], v[4:5], off
	global_load_dwordx2 v[20:21], v[208:209], off offset:408
	global_load_dwordx2 v[22:23], v[208:209], off offset:1056
	;; [unrolled: 1-line block ×4, first 2 shown]
	v_add_co_u32_e32 v4, vcc, s14, v4
	v_addc_co_u32_e32 v5, vcc, v5, v74, vcc
	global_load_dwordx2 v[28:29], v[4:5], off
	v_add_co_u32_e32 v4, vcc, s14, v4
	v_addc_co_u32_e32 v5, vcc, v5, v74, vcc
	global_load_dwordx2 v[30:31], v[4:5], off
	;; [unrolled: 3-line block ×4, first 2 shown]
	global_load_dwordx2 v[36:37], v[208:209], off offset:3000
	global_load_dwordx2 v[38:39], v[208:209], off offset:3648
	global_load_dwordx2 v[40:41], v[0:1], off offset:200
	global_load_dwordx2 v[42:43], v[0:1], off offset:848
	v_add_co_u32_e32 v4, vcc, s14, v4
	v_addc_co_u32_e32 v5, vcc, v5, v74, vcc
	global_load_dwordx2 v[44:45], v[4:5], off
	global_load_dwordx2 v[46:47], v[0:1], off offset:1496
	v_add_co_u32_e32 v4, vcc, s14, v4
	v_addc_co_u32_e32 v5, vcc, v5, v74, vcc
	global_load_dwordx2 v[48:49], v[4:5], off
	v_add_co_u32_e32 v4, vcc, s14, v4
	v_addc_co_u32_e32 v5, vcc, v5, v74, vcc
	global_load_dwordx2 v[50:51], v[4:5], off
	v_add_co_u32_e32 v4, vcc, s14, v4
	v_addc_co_u32_e32 v5, vcc, v5, v74, vcc
	global_load_dwordx2 v[52:53], v[0:1], off offset:2144
	global_load_dwordx2 v[54:55], v[4:5], off
	global_load_dwordx2 v[56:57], v[0:1], off offset:2792
	global_load_dwordx2 v[58:59], v[0:1], off offset:3440
	v_add_co_u32_e32 v4, vcc, s14, v4
	v_addc_co_u32_e32 v5, vcc, v5, v74, vcc
	global_load_dwordx2 v[60:61], v[4:5], off
	global_load_dwordx2 v[62:63], v[0:1], off offset:4088
	v_add_co_u32_e32 v0, vcc, s14, v4
	v_addc_co_u32_e32 v1, vcc, v5, v74, vcc
	global_load_dwordx2 v[4:5], v[0:1], off
	v_add_co_u32_e32 v0, vcc, s14, v0
	v_addc_co_u32_e32 v1, vcc, v1, v74, vcc
	global_load_dwordx2 v[64:65], v[2:3], off offset:640
	global_load_dwordx2 v[66:67], v[0:1], off
	global_load_dwordx2 v[68:69], v[2:3], off offset:1288
	v_add_co_u32_e32 v0, vcc, s14, v0
	v_addc_co_u32_e32 v1, vcc, v1, v74, vcc
	global_load_dwordx2 v[70:71], v[0:1], off
	global_load_dwordx2 v[72:73], v[2:3], off offset:1936
	v_add_co_u32_e32 v0, vcc, s14, v0
	v_addc_co_u32_e32 v1, vcc, v1, v74, vcc
	global_load_dwordx2 v[74:75], v[0:1], off
	global_load_dwordx2 v[76:77], v[2:3], off offset:2584
	s_waitcnt vmcnt(29)
	v_mul_f32_e32 v0, v11, v21
	v_mul_f32_e32 v1, v10, v21
	s_waitcnt vmcnt(28)
	v_mul_f32_e32 v2, v15, v23
	v_mul_f32_e32 v3, v14, v23
	v_fmac_f32_e32 v0, v10, v20
	v_fma_f32 v1, v11, v20, -v1
	v_fmac_f32_e32 v2, v14, v22
	v_fma_f32 v3, v15, v22, -v3
	ds_write2_b64 v213, v[0:1], v[2:3] offset0:51 offset1:132
	s_waitcnt vmcnt(27)
	v_mul_f32_e32 v0, v17, v25
	v_mul_f32_e32 v1, v16, v25
	s_waitcnt vmcnt(26)
	v_mul_f32_e32 v2, v19, v27
	v_mul_f32_e32 v3, v18, v27
	v_fmac_f32_e32 v0, v16, v24
	v_fma_f32 v1, v17, v24, -v1
	v_fmac_f32_e32 v2, v18, v26
	v_fma_f32 v3, v19, v26, -v3
	v_add_u32_e32 v10, 0x400, v213
	ds_write2_b64 v10, v[0:1], v[2:3] offset0:85 offset1:166
	v_add_u32_e32 v10, 0x1400, v213
	s_waitcnt vmcnt(21)
	v_mul_f32_e32 v0, v29, v37
	v_mul_f32_e32 v1, v28, v37
	s_waitcnt vmcnt(20)
	v_mul_f32_e32 v2, v31, v39
	v_mul_f32_e32 v3, v30, v39
	v_fmac_f32_e32 v0, v28, v36
	v_fma_f32 v1, v29, v36, -v1
	v_fmac_f32_e32 v2, v30, v38
	v_fma_f32 v3, v31, v38, -v3
	ds_write2_b64 v6, v[0:1], v[2:3] offset0:119 offset1:200
	s_waitcnt vmcnt(19)
	v_mul_f32_e32 v0, v33, v41
	v_mul_f32_e32 v1, v32, v41
	s_waitcnt vmcnt(18)
	v_mul_f32_e32 v2, v35, v43
	v_mul_f32_e32 v3, v34, v43
	v_fmac_f32_e32 v0, v32, v40
	v_fma_f32 v1, v33, v40, -v1
	v_fmac_f32_e32 v2, v34, v42
	v_fma_f32 v3, v35, v42, -v3
	ds_write2_b64 v8, v[0:1], v[2:3] offset0:25 offset1:106
	;; [unrolled: 11-line block ×6, first 2 shown]
	s_waitcnt vmcnt(0)
	v_mul_f32_e32 v0, v75, v77
	v_mul_f32_e32 v1, v74, v77
	v_fmac_f32_e32 v0, v74, v76
	v_fma_f32 v1, v75, v76, -v1
	ds_write_b64 v213, v[0:1] offset:10776
.LBB0_3:
	s_or_b64 exec, exec, s[2:3]
	s_waitcnt lgkmcnt(0)
	; wave barrier
	s_waitcnt lgkmcnt(0)
	ds_read2_b64 v[60:63], v213 offset1:81
	ds_read2_b64 v[52:55], v213 offset0:162 offset1:243
	ds_read2_b64 v[44:47], v6 offset0:68 offset1:149
	;; [unrolled: 1-line block ×7, first 2 shown]
	ds_read_b64 v[68:69], v213 offset:10368
	s_load_dwordx2 s[2:3], s[4:5], 0x8
	v_mov_b32_e32 v12, 0
	v_mov_b32_e32 v13, 0
                                        ; implicit-def: $vgpr18
                                        ; implicit-def: $vgpr24
                                        ; implicit-def: $vgpr36
                                        ; implicit-def: $vgpr40
                                        ; implicit-def: $vgpr64
                                        ; implicit-def: $vgpr34
                                        ; implicit-def: $vgpr30
                                        ; implicit-def: $vgpr22
	s_and_saveexec_b64 s[4:5], s[0:1]
	s_cbranch_execz .LBB0_5
; %bb.4:
	v_add_u32_e32 v16, 0x400, v213
	ds_read2_b64 v[20:23], v16 offset0:85 offset1:166
	v_add_u32_e32 v16, 0x800, v213
	ds_read2_b64 v[28:31], v16 offset0:119 offset1:200
	;; [unrolled: 2-line block ×3, first 2 shown]
	v_add_u32_e32 v16, 0x1400, v213
	v_add_u32_e32 v24, 0x1800, v213
	v_add_u32_e32 v36, 0x1c00, v213
	v_add_u32_e32 v40, 0x2000, v213
	ds_read2_b64 v[12:15], v213 offset0:51 offset1:132
	ds_read2_b64 v[16:19], v16 offset0:59 offset1:140
	;; [unrolled: 1-line block ×5, first 2 shown]
	ds_read_b64 v[64:65], v213 offset:10776
.LBB0_5:
	s_or_b64 exec, exec, s[4:5]
	s_waitcnt lgkmcnt(0)
	v_add_f32_e32 v66, v60, v62
	v_add_f32_e32 v67, v61, v63
	;; [unrolled: 1-line block ×31, first 2 shown]
	v_sub_f32_e32 v62, v62, v68
	v_sub_f32_e32 v63, v63, v69
	v_add_f32_e32 v67, v67, v59
	v_add_f32_e32 v66, v66, v68
	v_mul_f32_e32 v68, 0xbeb8f4ab, v63
	s_mov_b32 s12, 0x3f6eb680
	v_mul_f32_e32 v72, 0xbeb8f4ab, v62
	v_mul_f32_e32 v74, 0xbf2c7751, v63
	s_mov_b32 s13, 0x3f3d2fb0
	v_mul_f32_e32 v76, 0xbf2c7751, v62
	;; [unrolled: 3-line block ×8, first 2 shown]
	v_add_f32_e32 v67, v67, v69
	v_fma_f32 v69, v70, s12, -v68
	v_mov_b32_e32 v73, v72
	v_fmac_f32_e32 v68, 0x3f6eb680, v70
	v_fma_f32 v75, v70, s13, -v74
	v_mov_b32_e32 v77, v76
	v_fmac_f32_e32 v74, 0x3f3d2fb0, v70
	;; [unrolled: 3-line block ×8, first 2 shown]
	v_add_f32_e32 v69, v60, v69
	v_fmac_f32_e32 v73, 0x3f6eb680, v71
	v_add_f32_e32 v68, v60, v68
	v_fma_f32 v72, v71, s12, -v72
	v_add_f32_e32 v75, v60, v75
	v_fmac_f32_e32 v77, 0x3f3d2fb0, v71
	v_add_f32_e32 v74, v60, v74
	v_fma_f32 v76, v71, s13, -v76
	;; [unrolled: 4-line block ×8, first 2 shown]
	v_add_f32_e32 v63, v59, v53
	v_sub_f32_e32 v53, v53, v59
	v_add_f32_e32 v73, v61, v73
	v_add_f32_e32 v72, v61, v72
	v_add_f32_e32 v77, v61, v77
	v_add_f32_e32 v76, v61, v76
	v_add_f32_e32 v81, v61, v81
	v_add_f32_e32 v80, v61, v80
	v_add_f32_e32 v85, v61, v85
	v_add_f32_e32 v84, v61, v84
	v_add_f32_e32 v89, v61, v89
	v_add_f32_e32 v88, v61, v88
	v_add_f32_e32 v93, v61, v93
	v_add_f32_e32 v92, v61, v92
	v_add_f32_e32 v97, v61, v97
	v_add_f32_e32 v96, v61, v96
	v_add_f32_e32 v99, v61, v99
	v_add_f32_e32 v61, v61, v62
	v_add_f32_e32 v62, v58, v52
	v_sub_f32_e32 v52, v52, v58
	v_mul_f32_e32 v58, 0xbf2c7751, v53
	v_fma_f32 v59, v62, s13, -v58
	v_add_f32_e32 v59, v59, v69
	v_mul_f32_e32 v69, 0xbf2c7751, v52
	v_fmac_f32_e32 v58, 0x3f3d2fb0, v62
	v_mov_b32_e32 v70, v69
	v_add_f32_e32 v58, v58, v68
	v_fma_f32 v68, v63, s13, -v69
	v_mul_f32_e32 v69, 0xbf7ee86f, v53
	v_fmac_f32_e32 v70, 0x3f3d2fb0, v63
	v_add_f32_e32 v68, v68, v72
	v_fma_f32 v71, v62, s15, -v69
	v_mul_f32_e32 v72, 0xbf7ee86f, v52
	v_fmac_f32_e32 v69, 0x3dbcf732, v62
	v_add_f32_e32 v70, v70, v73
	v_mov_b32_e32 v73, v72
	v_add_f32_e32 v69, v69, v74
	v_fma_f32 v72, v63, s15, -v72
	v_mul_f32_e32 v74, 0xbf4c4adb, v53
	v_add_f32_e32 v71, v71, v75
	v_fmac_f32_e32 v73, 0x3dbcf732, v63
	v_add_f32_e32 v72, v72, v76
	v_fma_f32 v75, v62, s19, -v74
	v_mul_f32_e32 v76, 0xbf4c4adb, v52
	v_fmac_f32_e32 v74, 0xbf1a4643, v62
	v_add_f32_e32 v73, v73, v77
	v_mov_b32_e32 v77, v76
	v_add_f32_e32 v74, v74, v78
	v_fma_f32 v76, v63, s19, -v76
	v_mul_f32_e32 v78, 0xbe3c28d5, v53
	v_add_f32_e32 v75, v75, v79
	;; [unrolled: 11-line block ×5, first 2 shown]
	v_add_f32_e32 v88, v88, v92
	v_fma_f32 v91, v62, s14, -v90
	v_mul_f32_e32 v92, 0x3f65296c, v52
	v_mul_f32_e32 v52, 0x3eb8f4ab, v52
	v_add_f32_e32 v91, v91, v95
	v_fmac_f32_e32 v90, 0x3ee437d1, v62
	v_mul_f32_e32 v53, 0x3eb8f4ab, v53
	v_mov_b32_e32 v95, v52
	v_fma_f32 v52, v63, s12, -v52
	v_add_f32_e32 v90, v90, v94
	v_fma_f32 v94, v62, s12, -v53
	v_fmac_f32_e32 v53, 0x3f6eb680, v62
	v_add_f32_e32 v52, v52, v61
	v_add_f32_e32 v61, v57, v55
	v_sub_f32_e32 v55, v55, v57
	v_add_f32_e32 v53, v53, v60
	v_add_f32_e32 v60, v56, v54
	v_sub_f32_e32 v54, v54, v56
	v_mul_f32_e32 v56, 0xbf65296c, v55
	v_fma_f32 v57, v60, s14, -v56
	v_fmac_f32_e32 v89, 0xbe8c1d8e, v63
	v_add_f32_e32 v57, v57, v59
	v_mul_f32_e32 v59, 0xbf65296c, v54
	v_fmac_f32_e32 v56, 0x3ee437d1, v60
	v_add_f32_e32 v89, v89, v93
	v_mov_b32_e32 v93, v92
	v_mov_b32_e32 v62, v59
	v_add_f32_e32 v56, v56, v58
	v_fma_f32 v58, v61, s14, -v59
	v_mul_f32_e32 v59, 0xbf4c4adb, v55
	v_fmac_f32_e32 v93, 0x3ee437d1, v63
	v_fma_f32 v92, v63, s14, -v92
	v_fmac_f32_e32 v95, 0x3f6eb680, v63
	v_fma_f32 v63, v60, s19, -v59
	v_fmac_f32_e32 v59, 0xbf1a4643, v60
	v_fmac_f32_e32 v62, 0x3ee437d1, v61
	v_add_f32_e32 v58, v58, v68
	v_mul_f32_e32 v68, 0xbf4c4adb, v54
	v_add_f32_e32 v59, v59, v69
	v_mul_f32_e32 v69, 0x3e3c28d5, v55
	v_add_f32_e32 v62, v62, v70
	v_add_f32_e32 v63, v63, v71
	v_mov_b32_e32 v70, v68
	v_fma_f32 v68, v61, s19, -v68
	v_fma_f32 v71, v60, s21, -v69
	v_fmac_f32_e32 v69, 0xbf7ba420, v60
	v_fmac_f32_e32 v70, 0xbf1a4643, v61
	v_add_f32_e32 v68, v68, v72
	v_mul_f32_e32 v72, 0x3e3c28d5, v54
	v_add_f32_e32 v69, v69, v74
	v_mul_f32_e32 v74, 0x3f763a35, v55
	v_add_f32_e32 v70, v70, v73
	v_add_f32_e32 v71, v71, v75
	v_mov_b32_e32 v73, v72
	v_fma_f32 v72, v61, s21, -v72
	v_fma_f32 v75, v60, s18, -v74
	v_fmac_f32_e32 v74, 0xbe8c1d8e, v60
	v_fmac_f32_e32 v73, 0xbf7ba420, v61
	v_add_f32_e32 v72, v72, v76
	v_mul_f32_e32 v76, 0x3f763a35, v54
	v_add_f32_e32 v74, v74, v78
	v_mul_f32_e32 v78, 0x3f2c7751, v55
	v_add_f32_e32 v73, v73, v77
	v_add_f32_e32 v75, v75, v79
	v_mov_b32_e32 v77, v76
	v_fma_f32 v76, v61, s18, -v76
	v_fma_f32 v79, v60, s13, -v78
	v_fmac_f32_e32 v78, 0x3f3d2fb0, v60
	v_fmac_f32_e32 v77, 0xbe8c1d8e, v61
	v_add_f32_e32 v76, v76, v80
	v_mul_f32_e32 v80, 0x3f2c7751, v54
	v_add_f32_e32 v78, v78, v82
	v_mul_f32_e32 v82, 0xbeb8f4ab, v55
	v_add_f32_e32 v77, v77, v81
	v_add_f32_e32 v79, v79, v83
	v_mov_b32_e32 v81, v80
	v_fma_f32 v80, v61, s13, -v80
	v_fma_f32 v83, v60, s12, -v82
	v_fmac_f32_e32 v82, 0x3f6eb680, v60
	v_fmac_f32_e32 v81, 0x3f3d2fb0, v61
	v_add_f32_e32 v80, v80, v84
	v_mul_f32_e32 v84, 0xbeb8f4ab, v54
	v_add_f32_e32 v82, v82, v86
	v_mul_f32_e32 v86, 0xbf7ee86f, v55
	v_add_f32_e32 v81, v81, v85
	v_add_f32_e32 v83, v83, v87
	v_mov_b32_e32 v85, v84
	v_fma_f32 v84, v61, s12, -v84
	v_fma_f32 v87, v60, s15, -v86
	v_fmac_f32_e32 v86, 0x3dbcf732, v60
	v_mul_f32_e32 v55, 0xbf06c442, v55
	v_add_f32_e32 v84, v84, v88
	v_mul_f32_e32 v88, 0xbf7ee86f, v54
	v_add_f32_e32 v86, v86, v90
	v_fma_f32 v90, v60, s20, -v55
	v_mul_f32_e32 v54, 0xbf06c442, v54
	v_fmac_f32_e32 v55, 0xbf59a7d5, v60
	v_add_f32_e32 v87, v87, v91
	v_mov_b32_e32 v91, v54
	v_add_f32_e32 v53, v55, v53
	v_fma_f32 v54, v61, s20, -v54
	v_add_f32_e32 v55, v51, v45
	v_sub_f32_e32 v45, v45, v51
	v_add_f32_e32 v52, v54, v52
	v_add_f32_e32 v54, v50, v44
	v_sub_f32_e32 v44, v44, v50
	v_mul_f32_e32 v50, 0xbf7ee86f, v45
	v_fma_f32 v51, v54, s15, -v50
	v_fmac_f32_e32 v85, 0x3f6eb680, v61
	v_add_f32_e32 v51, v51, v57
	v_mul_f32_e32 v57, 0xbf7ee86f, v44
	v_fmac_f32_e32 v50, 0x3dbcf732, v54
	v_add_f32_e32 v85, v85, v89
	v_mov_b32_e32 v89, v88
	v_mov_b32_e32 v60, v57
	v_add_f32_e32 v50, v50, v56
	v_fma_f32 v56, v55, s15, -v57
	v_mul_f32_e32 v57, 0xbe3c28d5, v45
	v_fmac_f32_e32 v89, 0x3dbcf732, v61
	v_fma_f32 v88, v61, s15, -v88
	v_fmac_f32_e32 v91, 0xbf59a7d5, v61
	v_fmac_f32_e32 v60, 0x3dbcf732, v55
	v_add_f32_e32 v56, v56, v58
	v_fma_f32 v58, v54, s21, -v57
	v_mul_f32_e32 v61, 0xbe3c28d5, v44
	v_fmac_f32_e32 v57, 0xbf7ba420, v54
	v_add_f32_e32 v60, v60, v62
	v_mov_b32_e32 v62, v61
	v_add_f32_e32 v57, v57, v59
	v_fma_f32 v59, v55, s21, -v61
	v_mul_f32_e32 v61, 0x3f763a35, v45
	v_add_f32_e32 v58, v58, v63
	v_fma_f32 v63, v54, s18, -v61
	v_fmac_f32_e32 v61, 0xbe8c1d8e, v54
	v_fmac_f32_e32 v62, 0xbf7ba420, v55
	v_add_f32_e32 v59, v59, v68
	v_mul_f32_e32 v68, 0x3f763a35, v44
	v_add_f32_e32 v61, v61, v69
	v_mul_f32_e32 v69, 0x3eb8f4ab, v45
	v_add_f32_e32 v62, v62, v70
	v_add_f32_e32 v63, v63, v71
	v_mov_b32_e32 v70, v68
	v_fma_f32 v68, v55, s18, -v68
	v_fma_f32 v71, v54, s12, -v69
	v_fmac_f32_e32 v69, 0x3f6eb680, v54
	v_fmac_f32_e32 v70, 0xbe8c1d8e, v55
	v_add_f32_e32 v68, v68, v72
	v_mul_f32_e32 v72, 0x3eb8f4ab, v44
	v_add_f32_e32 v69, v69, v74
	v_mul_f32_e32 v74, 0xbf65296c, v45
	v_add_f32_e32 v70, v70, v73
	v_add_f32_e32 v71, v71, v75
	v_mov_b32_e32 v73, v72
	v_fma_f32 v72, v55, s12, -v72
	;; [unrolled: 11-line block ×4, first 2 shown]
	v_fma_f32 v83, v54, s19, -v82
	v_fmac_f32_e32 v82, 0xbf1a4643, v54
	v_mul_f32_e32 v45, 0x3f2c7751, v45
	v_add_f32_e32 v80, v80, v84
	v_mul_f32_e32 v84, 0x3f4c4adb, v44
	v_add_f32_e32 v82, v82, v86
	v_fma_f32 v86, v54, s13, -v45
	v_mul_f32_e32 v44, 0x3f2c7751, v44
	v_fmac_f32_e32 v45, 0x3f3d2fb0, v54
	v_add_f32_e32 v83, v83, v87
	v_mov_b32_e32 v87, v44
	v_add_f32_e32 v45, v45, v53
	v_fma_f32 v44, v55, s13, -v44
	v_add_f32_e32 v53, v49, v47
	v_sub_f32_e32 v47, v47, v49
	v_add_f32_e32 v44, v44, v52
	v_add_f32_e32 v52, v48, v46
	v_sub_f32_e32 v46, v46, v48
	v_mul_f32_e32 v48, 0xbf763a35, v47
	v_fma_f32 v49, v52, s18, -v48
	v_fmac_f32_e32 v81, 0xbf59a7d5, v55
	v_add_f32_e32 v49, v49, v51
	v_mul_f32_e32 v51, 0xbf763a35, v46
	v_fmac_f32_e32 v48, 0xbe8c1d8e, v52
	v_add_f32_e32 v81, v81, v85
	v_mov_b32_e32 v85, v84
	v_mov_b32_e32 v54, v51
	v_add_f32_e32 v48, v48, v50
	v_fma_f32 v50, v53, s18, -v51
	v_mul_f32_e32 v51, 0x3f06c442, v47
	v_fmac_f32_e32 v85, 0xbf1a4643, v55
	v_fma_f32 v84, v55, s19, -v84
	v_fmac_f32_e32 v87, 0x3f3d2fb0, v55
	v_add_f32_e32 v50, v50, v56
	v_fma_f32 v55, v52, s20, -v51
	v_mul_f32_e32 v56, 0x3f06c442, v46
	v_fmac_f32_e32 v51, 0xbf59a7d5, v52
	v_add_f32_e32 v55, v55, v58
	v_mov_b32_e32 v58, v56
	v_add_f32_e32 v51, v51, v57
	v_fma_f32 v56, v53, s20, -v56
	v_mul_f32_e32 v57, 0x3f2c7751, v47
	v_fmac_f32_e32 v54, 0xbe8c1d8e, v53
	v_add_f32_e32 v56, v56, v59
	v_fma_f32 v59, v52, s13, -v57
	v_fmac_f32_e32 v57, 0x3f3d2fb0, v52
	v_add_f32_e32 v54, v54, v60
	v_fmac_f32_e32 v58, 0xbf59a7d5, v53
	v_mul_f32_e32 v60, 0x3f2c7751, v46
	v_add_f32_e32 v57, v57, v61
	v_mul_f32_e32 v61, 0xbf65296c, v47
	v_add_f32_e32 v58, v58, v62
	v_add_f32_e32 v59, v59, v63
	v_mov_b32_e32 v62, v60
	v_fma_f32 v60, v53, s13, -v60
	v_fma_f32 v63, v52, s14, -v61
	v_fmac_f32_e32 v61, 0x3ee437d1, v52
	v_fmac_f32_e32 v62, 0x3f3d2fb0, v53
	v_add_f32_e32 v60, v60, v68
	v_mul_f32_e32 v68, 0xbf65296c, v46
	v_add_f32_e32 v61, v61, v69
	v_mul_f32_e32 v69, 0xbe3c28d5, v47
	v_add_f32_e32 v62, v62, v70
	v_add_f32_e32 v63, v63, v71
	v_mov_b32_e32 v70, v68
	v_fma_f32 v68, v53, s14, -v68
	v_fma_f32 v71, v52, s21, -v69
	v_fmac_f32_e32 v69, 0xbf7ba420, v52
	v_fmac_f32_e32 v70, 0x3ee437d1, v53
	v_add_f32_e32 v68, v68, v72
	;; [unrolled: 11-line block ×3, first 2 shown]
	v_mul_f32_e32 v76, 0x3f7ee86f, v46
	v_add_f32_e32 v74, v74, v78
	v_mul_f32_e32 v78, 0xbeb8f4ab, v47
	v_add_f32_e32 v73, v73, v77
	v_add_f32_e32 v75, v75, v79
	v_mov_b32_e32 v77, v76
	v_fma_f32 v76, v53, s15, -v76
	v_fma_f32 v79, v52, s12, -v78
	v_fmac_f32_e32 v78, 0x3f6eb680, v52
	v_mul_f32_e32 v47, 0xbf4c4adb, v47
	v_add_f32_e32 v76, v76, v80
	v_mul_f32_e32 v80, 0xbeb8f4ab, v46
	v_add_f32_e32 v78, v78, v82
	v_fma_f32 v82, v52, s19, -v47
	v_mul_f32_e32 v46, 0xbf4c4adb, v46
	v_fmac_f32_e32 v47, 0xbf1a4643, v52
	v_add_f32_e32 v79, v79, v83
	v_mov_b32_e32 v83, v46
	v_add_f32_e32 v45, v47, v45
	v_fma_f32 v46, v53, s19, -v46
	v_add_f32_e32 v47, v11, v5
	v_sub_f32_e32 v5, v5, v11
	v_add_f32_e32 v44, v46, v44
	v_add_f32_e32 v46, v10, v4
	v_sub_f32_e32 v4, v4, v10
	v_mul_f32_e32 v10, 0xbf4c4adb, v5
	v_fma_f32 v11, v46, s19, -v10
	v_fmac_f32_e32 v77, 0x3dbcf732, v53
	v_add_f32_e32 v11, v11, v49
	v_mul_f32_e32 v49, 0xbf4c4adb, v4
	v_fmac_f32_e32 v10, 0xbf1a4643, v46
	v_add_f32_e32 v77, v77, v81
	v_mov_b32_e32 v81, v80
	v_mov_b32_e32 v52, v49
	v_add_f32_e32 v10, v10, v48
	v_fma_f32 v48, v47, s19, -v49
	v_mul_f32_e32 v49, 0x3f763a35, v5
	v_fmac_f32_e32 v81, 0x3f6eb680, v53
	v_fma_f32 v80, v53, s12, -v80
	v_fmac_f32_e32 v83, 0xbf1a4643, v53
	v_fmac_f32_e32 v52, 0xbf1a4643, v47
	v_add_f32_e32 v48, v48, v50
	v_fma_f32 v50, v46, s18, -v49
	v_mul_f32_e32 v53, 0x3f763a35, v4
	v_fmac_f32_e32 v49, 0xbe8c1d8e, v46
	v_add_f32_e32 v52, v52, v54
	v_mov_b32_e32 v54, v53
	v_add_f32_e32 v49, v49, v51
	v_fma_f32 v51, v47, s18, -v53
	v_mul_f32_e32 v53, 0xbeb8f4ab, v5
	v_add_f32_e32 v50, v50, v55
	v_fma_f32 v55, v46, s12, -v53
	v_fmac_f32_e32 v53, 0x3f6eb680, v46
	v_fmac_f32_e32 v54, 0xbe8c1d8e, v47
	v_add_f32_e32 v51, v51, v56
	v_mul_f32_e32 v56, 0xbeb8f4ab, v4
	v_add_f32_e32 v53, v53, v57
	v_mul_f32_e32 v57, 0xbf06c442, v5
	v_add_f32_e32 v54, v54, v58
	v_add_f32_e32 v55, v55, v59
	v_mov_b32_e32 v58, v56
	v_fma_f32 v56, v47, s12, -v56
	v_fma_f32 v59, v46, s20, -v57
	v_fmac_f32_e32 v57, 0xbf59a7d5, v46
	v_fmac_f32_e32 v58, 0x3f6eb680, v47
	v_add_f32_e32 v56, v56, v60
	v_mul_f32_e32 v60, 0xbf06c442, v4
	v_add_f32_e32 v57, v57, v61
	v_mul_f32_e32 v61, 0x3f7ee86f, v5
	v_add_f32_e32 v58, v58, v62
	v_add_f32_e32 v59, v59, v63
	v_mov_b32_e32 v62, v60
	v_fma_f32 v60, v47, s20, -v60
	;; [unrolled: 11-line block ×4, first 2 shown]
	v_fma_f32 v75, v46, s21, -v74
	v_fmac_f32_e32 v74, 0xbf7ba420, v46
	v_mul_f32_e32 v5, 0x3f65296c, v5
	v_add_f32_e32 v72, v72, v76
	v_mul_f32_e32 v76, 0xbe3c28d5, v4
	v_add_f32_e32 v74, v74, v78
	v_fma_f32 v78, v46, s14, -v5
	v_mul_f32_e32 v4, 0x3f65296c, v4
	v_fmac_f32_e32 v5, 0x3ee437d1, v46
	v_add_f32_e32 v75, v75, v79
	v_mov_b32_e32 v79, v4
	v_add_f32_e32 v5, v5, v45
	v_fma_f32 v4, v47, s14, -v4
	v_add_f32_e32 v45, v9, v7
	v_sub_f32_e32 v7, v7, v9
	v_add_f32_e32 v4, v4, v44
	v_add_f32_e32 v44, v8, v6
	v_sub_f32_e32 v6, v6, v8
	v_mul_f32_e32 v8, 0xbf06c442, v7
	v_fma_f32 v9, v44, s20, -v8
	v_fmac_f32_e32 v73, 0x3f3d2fb0, v47
	v_add_f32_e32 v9, v9, v11
	v_mul_f32_e32 v11, 0xbf06c442, v6
	v_fmac_f32_e32 v8, 0xbf59a7d5, v44
	v_add_f32_e32 v73, v73, v77
	v_mov_b32_e32 v77, v76
	v_mov_b32_e32 v46, v11
	v_add_f32_e32 v8, v8, v10
	v_fma_f32 v10, v45, s20, -v11
	v_mul_f32_e32 v11, 0x3f65296c, v7
	v_fmac_f32_e32 v77, 0xbf7ba420, v47
	v_fma_f32 v76, v47, s21, -v76
	v_fmac_f32_e32 v79, 0x3ee437d1, v47
	v_add_f32_e32 v10, v10, v48
	v_fma_f32 v47, v44, s14, -v11
	v_mul_f32_e32 v48, 0x3f65296c, v6
	v_add_f32_e32 v47, v47, v50
	v_mov_b32_e32 v50, v48
	v_fmac_f32_e32 v11, 0x3ee437d1, v44
	v_fmac_f32_e32 v46, 0xbf59a7d5, v45
	;; [unrolled: 1-line block ×3, first 2 shown]
	v_add_f32_e32 v11, v11, v49
	v_mul_f32_e32 v49, 0xbf7ee86f, v7
	v_add_f32_e32 v46, v46, v52
	v_add_f32_e32 v52, v50, v54
	v_fma_f32 v50, v44, s15, -v49
	v_fma_f32 v48, v45, s14, -v48
	v_add_f32_e32 v54, v50, v55
	v_mul_f32_e32 v50, 0xbf7ee86f, v6
	v_add_f32_e32 v48, v48, v51
	v_mov_b32_e32 v51, v50
	v_fmac_f32_e32 v49, 0x3dbcf732, v44
	v_fma_f32 v50, v45, s15, -v50
	v_fmac_f32_e32 v51, 0x3dbcf732, v45
	v_add_f32_e32 v49, v49, v53
	v_add_f32_e32 v53, v50, v56
	v_mul_f32_e32 v50, 0x3f4c4adb, v7
	v_add_f32_e32 v55, v51, v58
	v_fma_f32 v51, v44, s19, -v50
	v_add_f32_e32 v56, v51, v59
	v_mul_f32_e32 v51, 0x3f4c4adb, v6
	v_fmac_f32_e32 v50, 0xbf1a4643, v44
	v_add_f32_e32 v57, v50, v57
	v_fma_f32 v50, v45, s19, -v51
	v_add_f32_e32 v59, v50, v60
	v_mul_f32_e32 v50, 0xbeb8f4ab, v7
	v_mov_b32_e32 v58, v51
	v_fma_f32 v51, v44, s12, -v50
	v_add_f32_e32 v60, v51, v63
	v_mul_f32_e32 v51, 0xbeb8f4ab, v6
	v_fmac_f32_e32 v50, 0x3f6eb680, v44
	v_add_f32_e32 v61, v50, v61
	v_fma_f32 v50, v45, s12, -v51
	v_fmac_f32_e32 v58, 0xbf1a4643, v45
	v_add_f32_e32 v63, v50, v68
	v_mul_f32_e32 v50, 0xbe3c28d5, v7
	v_add_f32_e32 v58, v58, v62
	v_mov_b32_e32 v62, v51
	v_fma_f32 v51, v44, s21, -v50
	v_add_f32_e32 v68, v51, v71
	v_mul_f32_e32 v51, 0xbe3c28d5, v6
	v_fmac_f32_e32 v50, 0xbf7ba420, v44
	v_add_f32_e32 v92, v92, v96
	v_add_f32_e32 v69, v50, v69
	v_fma_f32 v50, v45, s21, -v51
	v_add_f32_e32 v94, v94, v98
	v_add_f32_e32 v95, v95, v99
	;; [unrolled: 1-line block ×3, first 2 shown]
	v_fmac_f32_e32 v62, 0x3f6eb680, v45
	v_add_f32_e32 v71, v50, v72
	v_mul_f32_e32 v50, 0x3f2c7751, v7
	v_add_f32_e32 v90, v90, v94
	v_add_f32_e32 v91, v91, v95
	;; [unrolled: 1-line block ×4, first 2 shown]
	v_mov_b32_e32 v70, v51
	v_fma_f32 v51, v44, s13, -v50
	v_add_f32_e32 v93, v93, v97
	v_add_f32_e32 v86, v86, v90
	;; [unrolled: 1-line block ×5, first 2 shown]
	v_mul_f32_e32 v51, 0x3f2c7751, v6
	v_fmac_f32_e32 v50, 0x3f3d2fb0, v44
	v_add_f32_e32 v89, v89, v93
	v_add_f32_e32 v82, v82, v86
	;; [unrolled: 1-line block ×5, first 2 shown]
	v_fma_f32 v50, v45, s13, -v51
	v_mul_f32_e32 v7, 0xbf763a35, v7
	v_add_f32_e32 v85, v85, v89
	v_add_f32_e32 v78, v78, v82
	;; [unrolled: 1-line block ×3, first 2 shown]
	v_fmac_f32_e32 v70, 0xbf7ba420, v45
	v_add_f32_e32 v75, v50, v76
	v_fma_f32 v50, v44, s18, -v7
	v_mul_f32_e32 v6, 0xbf763a35, v6
	v_sub_f32_e32 v83, v1, v3
	v_add_f32_e32 v81, v81, v85
	v_add_f32_e32 v70, v70, v73
	v_mov_b32_e32 v73, v51
	v_add_f32_e32 v76, v50, v78
	v_mov_b32_e32 v50, v6
	v_add_f32_e32 v80, v2, v0
	v_sub_f32_e32 v82, v0, v2
	v_mul_f32_e32 v0, 0xbe3c28d5, v83
	v_add_f32_e32 v77, v77, v81
	v_fmac_f32_e32 v73, 0x3f3d2fb0, v45
	v_fmac_f32_e32 v50, 0xbe8c1d8e, v45
	v_add_f32_e32 v81, v3, v1
	v_fma_f32 v1, v80, s21, -v0
	v_add_f32_e32 v73, v73, v77
	v_add_f32_e32 v77, v50, v79
	;; [unrolled: 1-line block ×3, first 2 shown]
	v_mul_f32_e32 v1, 0xbe3c28d5, v82
	v_fmac_f32_e32 v0, 0xbf7ba420, v80
	v_fmac_f32_e32 v7, 0xbe8c1d8e, v44
	v_add_f32_e32 v44, v0, v8
	v_fma_f32 v0, v81, s21, -v1
	v_add_f32_e32 v78, v7, v5
	v_fma_f32 v5, v45, s18, -v6
	v_mov_b32_e32 v2, v1
	v_add_f32_e32 v45, v0, v10
	v_mul_f32_e32 v0, 0x3eb8f4ab, v83
	v_fmac_f32_e32 v2, 0xbf7ba420, v81
	v_fma_f32 v1, v80, s12, -v0
	v_add_f32_e32 v51, v2, v46
	v_add_f32_e32 v46, v1, v47
	v_mul_f32_e32 v1, 0x3eb8f4ab, v82
	v_mov_b32_e32 v2, v1
	v_fmac_f32_e32 v2, 0x3f6eb680, v81
	v_add_f32_e32 v47, v2, v52
	v_mul_f32_e32 v2, 0xbf06c442, v83
	v_fma_f32 v3, v80, s20, -v2
	v_add_f32_e32 v54, v3, v54
	v_mul_f32_e32 v3, 0xbf06c442, v82
	v_add_f32_e32 v79, v5, v4
	v_mov_b32_e32 v4, v3
	v_fmac_f32_e32 v4, 0xbf59a7d5, v81
	v_add_f32_e32 v55, v4, v55
	v_mul_f32_e32 v4, 0x3f2c7751, v83
	v_fma_f32 v1, v81, s12, -v1
	v_fma_f32 v5, v80, s13, -v4
	v_add_f32_e32 v1, v1, v48
	v_add_f32_e32 v48, v5, v56
	v_mul_f32_e32 v5, 0x3f2c7751, v82
	v_mov_b32_e32 v6, v5
	v_fmac_f32_e32 v2, 0xbf59a7d5, v80
	v_fmac_f32_e32 v6, 0x3f3d2fb0, v81
	v_add_f32_e32 v2, v2, v49
	v_add_f32_e32 v49, v6, v58
	v_mul_f32_e32 v6, 0xbf4c4adb, v83
	v_fma_f32 v7, v80, s19, -v6
	v_add_f32_e32 v56, v7, v60
	v_mul_f32_e32 v7, 0xbf4c4adb, v82
	v_mov_b32_e32 v8, v7
	v_fmac_f32_e32 v4, 0x3f3d2fb0, v80
	v_fmac_f32_e32 v8, 0xbf1a4643, v81
	v_add_f32_e32 v4, v4, v57
	v_add_f32_e32 v57, v8, v62
	v_mul_f32_e32 v8, 0x3f65296c, v83
	v_fma_f32 v9, v80, s14, -v8
	v_fmac_f32_e32 v6, 0xbf1a4643, v80
	v_add_f32_e32 v52, v9, v68
	v_mul_f32_e32 v9, 0x3f65296c, v82
	v_mul_f32_e32 v60, 0x3f7ee86f, v83
	v_add_f32_e32 v6, v6, v61
	v_mov_b32_e32 v10, v9
	v_fma_f32 v61, v80, s15, -v60
	v_fma_f32 v3, v81, s20, -v3
	v_fmac_f32_e32 v10, 0x3ee437d1, v81
	v_add_f32_e32 v107, v61, v76
	v_mul_f32_e32 v61, 0x3f7ee86f, v82
	v_fmac_f32_e32 v0, 0x3f6eb680, v80
	v_add_f32_e32 v3, v3, v53
	v_add_f32_e32 v53, v10, v70
	v_mul_f32_e32 v10, 0xbf763a35, v83
	v_mov_b32_e32 v62, v61
	v_fmac_f32_e32 v60, 0x3dbcf732, v80
	v_sub_f32_e32 v97, v15, v65
	v_add_f32_e32 v0, v0, v11
	v_fma_f32 v11, v80, s18, -v10
	v_fmac_f32_e32 v62, 0x3dbcf732, v81
	v_add_f32_e32 v110, v60, v78
	v_fma_f32 v60, v81, s15, -v61
	v_mul_f32_e32 v214, 0xbeb8f4ab, v97
	v_fma_f32 v5, v81, s13, -v5
	v_fma_f32 v7, v81, s19, -v7
	v_add_f32_e32 v58, v11, v72
	v_mul_f32_e32 v11, 0xbf763a35, v82
	v_add_f32_e32 v108, v62, v77
	v_add_f32_e32 v111, v60, v79
	;; [unrolled: 1-line block ×3, first 2 shown]
	v_sub_f32_e32 v98, v14, v64
	v_mov_b32_e32 v62, v214
	v_add_f32_e32 v5, v5, v59
	v_add_f32_e32 v7, v7, v63
	v_fma_f32 v9, v81, s14, -v9
	v_mov_b32_e32 v59, v11
	v_add_f32_e32 v61, v65, v15
	v_mul_f32_e32 v63, 0xbeb8f4ab, v98
	v_fmac_f32_e32 v62, 0x3f6eb680, v60
	v_add_f32_e32 v9, v9, v71
	v_fmac_f32_e32 v59, 0xbe8c1d8e, v81
	v_add_f32_e32 v70, v62, v12
	v_fma_f32 v62, v61, s12, -v63
	v_mul_f32_e32 v71, 0xbf2c7751, v97
	v_add_f32_e32 v59, v59, v73
	v_fmac_f32_e32 v10, 0xbe8c1d8e, v80
	v_add_f32_e32 v73, v62, v13
	v_mov_b32_e32 v62, v71
	v_add_f32_e32 v10, v10, v74
	v_mul_f32_e32 v74, 0xbf2c7751, v98
	v_fmac_f32_e32 v62, 0x3f3d2fb0, v60
	v_add_f32_e32 v77, v62, v12
	v_fma_f32 v62, v61, s13, -v74
	v_mul_f32_e32 v76, 0xbf65296c, v97
	v_add_f32_e32 v79, v62, v13
	v_mov_b32_e32 v62, v76
	v_sub_f32_e32 v99, v21, v43
	v_fmac_f32_e32 v62, 0x3ee437d1, v60
	v_mul_f32_e32 v72, 0xbf2c7751, v99
	v_fmac_f32_e32 v8, 0x3ee437d1, v80
	v_fma_f32 v11, v81, s18, -v11
	v_add_f32_e32 v80, v62, v12
	v_add_f32_e32 v62, v42, v20
	v_sub_f32_e32 v100, v20, v42
	v_mov_b32_e32 v78, v72
	v_add_f32_e32 v11, v11, v75
	v_add_f32_e32 v68, v43, v21
	v_mul_f32_e32 v75, 0xbf2c7751, v100
	v_fmac_f32_e32 v78, 0x3f3d2fb0, v62
	v_add_f32_e32 v84, v78, v70
	v_fma_f32 v70, v68, s13, -v75
	v_mul_f32_e32 v78, 0xbf7ee86f, v99
	v_add_f32_e32 v85, v70, v73
	v_mov_b32_e32 v70, v78
	v_mul_f32_e32 v81, 0xbf7ee86f, v100
	v_fmac_f32_e32 v70, 0x3dbcf732, v62
	v_add_f32_e32 v77, v70, v77
	v_fma_f32 v70, v68, s15, -v81
	v_mul_f32_e32 v83, 0xbf4c4adb, v99
	v_add_f32_e32 v87, v70, v79
	v_mov_b32_e32 v70, v83
	v_sub_f32_e32 v101, v23, v41
	v_fmac_f32_e32 v70, 0xbf1a4643, v62
	v_mul_f32_e32 v79, 0xbf65296c, v101
	v_add_f32_e32 v80, v70, v80
	v_add_f32_e32 v70, v40, v22
	v_sub_f32_e32 v102, v22, v40
	v_mov_b32_e32 v86, v79
	v_add_f32_e32 v73, v41, v23
	v_mul_f32_e32 v82, 0xbf65296c, v102
	v_fmac_f32_e32 v86, 0x3ee437d1, v70
	v_add_f32_e32 v84, v86, v84
	v_fma_f32 v86, v73, s14, -v82
	v_add_f32_e32 v85, v86, v85
	v_mul_f32_e32 v86, 0xbf4c4adb, v101
	v_mov_b32_e32 v88, v86
	v_mul_f32_e32 v89, 0xbf4c4adb, v102
	v_fmac_f32_e32 v88, 0xbf1a4643, v70
	v_add_f32_e32 v88, v88, v77
	v_fma_f32 v77, v73, s19, -v89
	v_mul_f32_e32 v91, 0x3e3c28d5, v101
	v_add_f32_e32 v93, v77, v87
	v_mov_b32_e32 v77, v91
	v_sub_f32_e32 v104, v29, v39
	v_fmac_f32_e32 v77, 0xbf7ba420, v70
	v_mul_f32_e32 v87, 0xbf7ee86f, v104
	v_add_f32_e32 v95, v77, v80
	v_add_f32_e32 v77, v38, v28
	v_sub_f32_e32 v105, v28, v38
	v_mov_b32_e32 v92, v87
	v_add_f32_e32 v80, v39, v29
	v_mul_f32_e32 v90, 0xbf7ee86f, v105
	v_fmac_f32_e32 v92, 0x3dbcf732, v77
	v_add_f32_e32 v84, v92, v84
	v_fma_f32 v92, v80, s15, -v90
	v_add_f32_e32 v103, v92, v85
	v_mul_f32_e32 v92, 0xbe3c28d5, v104
	v_mov_b32_e32 v85, v92
	v_mul_f32_e32 v94, 0xbe3c28d5, v105
	v_fmac_f32_e32 v85, 0xbf7ba420, v77
	v_add_f32_e32 v106, v85, v88
	v_fma_f32 v85, v80, s21, -v94
	v_mul_f32_e32 v96, 0x3f763a35, v104
	v_add_f32_e32 v113, v85, v93
	v_mov_b32_e32 v85, v96
	v_sub_f32_e32 v109, v31, v37
	v_fmac_f32_e32 v85, 0xbe8c1d8e, v77
	v_mul_f32_e32 v93, 0xbf763a35, v109
	v_add_f32_e32 v114, v85, v95
	v_add_f32_e32 v85, v36, v30
	v_sub_f32_e32 v112, v30, v36
	v_mov_b32_e32 v115, v93
	v_add_f32_e32 v88, v37, v31
	v_mul_f32_e32 v95, 0xbf763a35, v112
	v_fmac_f32_e32 v115, 0xbe8c1d8e, v85
	v_add_f32_e32 v84, v115, v84
	v_fma_f32 v115, v88, s18, -v95
	v_add_f32_e32 v115, v115, v103
	v_mul_lo_u16_e32 v103, 17, v207
	v_lshlrev_b32_e32 v216, 3, v103
	s_waitcnt lgkmcnt(0)
	; wave barrier
	ds_write2_b64 v216, v[66:67], v[50:51] offset1:1
	v_mul_f32_e32 v66, 0x3f06c442, v109
	v_mov_b32_e32 v50, v66
	v_mul_f32_e32 v67, 0x3f06c442, v112
	v_fmac_f32_e32 v50, 0xbf59a7d5, v85
	v_add_f32_e32 v106, v50, v106
	v_fma_f32 v50, v88, s20, -v67
	v_mul_f32_e32 v103, 0x3f2c7751, v109
	v_add_f32_e32 v113, v50, v113
	v_mov_b32_e32 v50, v103
	v_sub_f32_e32 v147, v33, v27
	v_fmac_f32_e32 v50, 0x3f3d2fb0, v85
	v_mul_f32_e32 v51, 0xbf4c4adb, v147
	v_add_f32_e32 v114, v50, v114
	v_add_f32_e32 v50, v26, v32
	ds_write2_b64 v216, v[46:47], v[54:55] offset0:2 offset1:3
	v_mov_b32_e32 v47, v51
	v_sub_f32_e32 v156, v32, v26
	v_add_f32_e32 v46, v27, v33
	v_fmac_f32_e32 v47, 0xbf1a4643, v50
	v_mul_f32_e32 v54, 0xbf4c4adb, v156
	v_add_f32_e32 v84, v47, v84
	v_fma_f32 v47, v46, s19, -v54
	v_mul_f32_e32 v55, 0x3f763a35, v147
	ds_write2_b64 v216, v[48:49], v[56:57] offset0:4 offset1:5
	v_add_f32_e32 v49, v47, v115
	v_mov_b32_e32 v47, v55
	v_mul_f32_e32 v57, 0x3f763a35, v156
	v_fmac_f32_e32 v47, 0xbe8c1d8e, v50
	v_add_f32_e32 v115, v47, v106
	v_fma_f32 v47, v46, s18, -v57
	v_mul_f32_e32 v106, 0xbeb8f4ab, v147
	v_add_f32_e32 v113, v47, v113
	v_mov_b32_e32 v47, v106
	v_sub_f32_e32 v157, v35, v25
	v_fmac_f32_e32 v47, 0x3f6eb680, v50
	ds_write2_b64 v216, v[52:53], v[58:59] offset0:6 offset1:7
	v_mul_f32_e32 v53, 0xbf06c442, v157
	v_add_f32_e32 v114, v47, v114
	v_add_f32_e32 v47, v24, v34
	v_sub_f32_e32 v158, v34, v24
	v_mov_b32_e32 v52, v53
	v_add_f32_e32 v48, v25, v35
	v_mul_f32_e32 v56, 0xbf06c442, v158
	v_fmac_f32_e32 v52, 0xbf59a7d5, v47
	v_add_f32_e32 v84, v52, v84
	v_fma_f32 v52, v48, s20, -v56
	v_mul_f32_e32 v59, 0x3f65296c, v157
	ds_write2_b64 v216, v[107:108], v[110:111] offset0:8 offset1:9
	v_add_f32_e32 v110, v52, v49
	v_mov_b32_e32 v49, v59
	v_fmac_f32_e32 v49, 0x3ee437d1, v47
	v_mul_f32_e32 v108, 0x3f65296c, v158
	v_sub_f32_e32 v159, v17, v19
	v_add_f32_e32 v115, v49, v115
	v_fma_f32 v49, v48, s14, -v108
	v_mul_f32_e32 v58, 0xbe3c28d5, v159
	v_add_f32_e32 v113, v49, v113
	v_add_f32_e32 v49, v18, v16
	v_sub_f32_e32 v160, v16, v18
	ds_write2_b64 v216, v[6:7], v[4:5] offset0:12 offset1:13
	v_mov_b32_e32 v4, v58
	v_add_f32_e32 v52, v19, v17
	v_mul_f32_e32 v107, 0xbe3c28d5, v160
	v_fmac_f32_e32 v4, 0xbf7ba420, v49
	v_add_f32_e32 v172, v4, v84
	v_fma_f32 v4, v52, s21, -v107
	v_add_f32_e32 v173, v4, v110
	v_mul_f32_e32 v110, 0x3eb8f4ab, v159
	ds_write2_b64 v216, v[2:3], v[0:1] offset0:14 offset1:15
	v_mov_b32_e32 v0, v110
	v_mul_f32_e32 v111, 0x3eb8f4ab, v160
	v_fmac_f32_e32 v0, 0x3f6eb680, v49
	v_add_f32_e32 v251, v0, v115
	v_fma_f32 v0, v52, s12, -v111
	v_add_f32_e32 v252, v0, v113
	v_mul_f32_e32 v113, 0xbf7ee86f, v157
	v_mov_b32_e32 v0, v113
	v_fmac_f32_e32 v0, 0x3dbcf732, v47
	v_add_f32_e32 v0, v0, v114
	v_mul_f32_e32 v114, 0xbf06c442, v159
	v_mov_b32_e32 v1, v114
	v_fmac_f32_e32 v1, 0xbf59a7d5, v49
	v_mul_f32_e32 v115, 0xbf65296c, v98
	v_add_f32_e32 v249, v1, v0
	v_fma_f32 v1, v61, s14, -v115
	v_mul_f32_e32 v116, 0xbf4c4adb, v100
	v_add_f32_e32 v1, v1, v13
	v_fma_f32 v4, v68, s19, -v116
	;; [unrolled: 3-line block ×8, first 2 shown]
	v_mul_f32_e32 v123, 0xbf7ee86f, v97
	v_add_f32_e32 v250, v4, v1
	v_mov_b32_e32 v4, v123
	v_mul_f32_e32 v124, 0xbe3c28d5, v99
	v_fmac_f32_e32 v4, 0x3dbcf732, v60
	v_mov_b32_e32 v5, v124
	v_add_f32_e32 v4, v4, v12
	v_fmac_f32_e32 v5, 0xbf7ba420, v62
	v_mul_f32_e32 v128, 0xbf7ee86f, v98
	v_add_f32_e32 v4, v5, v4
	v_fma_f32 v5, v61, s15, -v128
	v_mul_f32_e32 v129, 0xbe3c28d5, v100
	v_add_f32_e32 v5, v5, v13
	v_fma_f32 v6, v68, s21, -v129
	v_mul_f32_e32 v125, 0x3f763a35, v101
	v_add_f32_e32 v5, v6, v5
	v_mov_b32_e32 v6, v125
	v_fmac_f32_e32 v6, 0xbe8c1d8e, v70
	v_mul_f32_e32 v131, 0x3f763a35, v102
	v_add_f32_e32 v4, v6, v4
	v_fma_f32 v6, v73, s18, -v131
	v_mul_f32_e32 v126, 0x3eb8f4ab, v104
	v_add_f32_e32 v5, v6, v5
	v_mov_b32_e32 v6, v126
	v_fmac_f32_e32 v6, 0x3f6eb680, v77
	;; [unrolled: 7-line block ×6, first 2 shown]
	v_mul_f32_e32 v138, 0x3f2c7751, v160
	v_mul_f32_e32 v139, 0xbf763a35, v97
	v_fma_f32 v7, v52, s13, -v138
	v_add_f32_e32 v2, v6, v4
	v_mov_b32_e32 v4, v139
	v_mul_f32_e32 v140, 0x3f06c442, v99
	v_add_f32_e32 v3, v7, v5
	v_fmac_f32_e32 v4, 0xbe8c1d8e, v60
	v_mov_b32_e32 v5, v140
	v_add_f32_e32 v4, v4, v12
	v_fmac_f32_e32 v5, 0xbf59a7d5, v62
	v_mul_f32_e32 v141, 0x3f2c7751, v101
	v_add_f32_e32 v4, v5, v4
	v_mov_b32_e32 v5, v141
	v_fmac_f32_e32 v5, 0x3f3d2fb0, v70
	v_mul_f32_e32 v142, 0xbf65296c, v104
	v_add_f32_e32 v4, v5, v4
	v_mov_b32_e32 v5, v142
	;; [unrolled: 4-line block ×6, first 2 shown]
	v_fmac_f32_e32 v5, 0xbf1a4643, v49
	v_mul_f32_e32 v149, 0xbf763a35, v98
	v_add_f32_e32 v8, v8, v69
	v_add_f32_e32 v0, v5, v4
	v_fma_f32 v5, v61, s18, -v149
	v_mul_f32_e32 v150, 0x3f06c442, v100
	ds_write2_b64 v216, v[10:11], v[8:9] offset0:10 offset1:11
	v_add_f32_e32 v5, v5, v13
	v_fma_f32 v8, v68, s20, -v150
	v_mul_f32_e32 v148, 0x3f2c7751, v102
	v_add_f32_e32 v5, v8, v5
	v_fma_f32 v8, v73, s13, -v148
	v_mul_f32_e32 v151, 0xbf65296c, v105
	;; [unrolled: 3-line block ×7, first 2 shown]
	v_add_f32_e32 v1, v8, v5
	v_mov_b32_e32 v8, v161
	v_mul_f32_e32 v162, 0x3f763a35, v99
	v_fmac_f32_e32 v8, 0xbf1a4643, v60
	v_mov_b32_e32 v9, v162
	v_add_f32_e32 v8, v8, v12
	v_fmac_f32_e32 v9, 0xbe8c1d8e, v62
	v_mul_f32_e32 v171, 0xbf4c4adb, v98
	v_add_f32_e32 v8, v9, v8
	v_fma_f32 v9, v61, s19, -v171
	v_mul_f32_e32 v169, 0x3f763a35, v100
	v_add_f32_e32 v9, v9, v13
	v_fma_f32 v10, v68, s18, -v169
	v_mul_f32_e32 v163, 0xbeb8f4ab, v101
	v_add_f32_e32 v9, v10, v9
	v_mov_b32_e32 v10, v163
	v_fmac_f32_e32 v10, 0x3f6eb680, v70
	v_mul_f32_e32 v170, 0xbeb8f4ab, v102
	v_add_f32_e32 v8, v10, v8
	v_fma_f32 v10, v73, s12, -v170
	v_mul_f32_e32 v164, 0xbf06c442, v104
	v_add_f32_e32 v9, v10, v9
	v_mov_b32_e32 v10, v164
	v_fmac_f32_e32 v10, 0xbf59a7d5, v77
	;; [unrolled: 7-line block ×5, first 2 shown]
	v_mul_f32_e32 v218, 0xbe3c28d5, v158
	v_add_f32_e32 v8, v10, v8
	v_fma_f32 v10, v48, s21, -v218
	v_mul_f32_e32 v168, 0x3f65296c, v159
	v_add_f32_e32 v9, v10, v9
	v_mov_b32_e32 v10, v168
	buffer_store_dword v0, off, s[24:27], 0 ; 4-byte Folded Spill
	s_nop 0
	buffer_store_dword v1, off, s[24:27], 0 offset:4 ; 4-byte Folded Spill
	buffer_store_dword v2, off, s[24:27], 0 offset:8 ; 4-byte Folded Spill
	;; [unrolled: 1-line block ×3, first 2 shown]
	v_fmac_f32_e32 v10, 0x3ee437d1, v49
	v_mul_f32_e32 v219, 0x3f65296c, v160
	v_mul_f32_e32 v226, 0xbf06c442, v97
	v_fma_f32 v11, v52, s14, -v219
	v_add_f32_e32 v2, v10, v8
	v_mov_b32_e32 v8, v226
	v_mul_f32_e32 v227, 0x3f65296c, v99
	v_add_f32_e32 v3, v11, v9
	v_fmac_f32_e32 v8, 0xbf59a7d5, v60
	v_mov_b32_e32 v9, v227
	v_add_f32_e32 v8, v8, v12
	v_fmac_f32_e32 v9, 0x3ee437d1, v62
	v_mul_f32_e32 v225, 0xbf7ee86f, v101
	v_add_f32_e32 v8, v9, v8
	v_mov_b32_e32 v9, v225
	v_fmac_f32_e32 v9, 0x3dbcf732, v70
	v_mul_f32_e32 v224, 0x3f4c4adb, v104
	v_add_f32_e32 v8, v9, v8
	v_mov_b32_e32 v9, v224
	;; [unrolled: 4-line block ×6, first 2 shown]
	v_fmac_f32_e32 v9, 0xbe8c1d8e, v49
	v_mul_f32_e32 v235, 0xbf06c442, v98
	v_add_f32_e32 v0, v9, v8
	v_fma_f32 v9, v61, s20, -v235
	v_mul_f32_e32 v234, 0x3f65296c, v100
	v_add_f32_e32 v9, v9, v13
	v_fma_f32 v84, v68, s14, -v234
	;; [unrolled: 3-line block ×8, first 2 shown]
	v_add_f32_e32 v1, v84, v9
	v_add_co_u32_e32 v84, vcc, 51, v207
	v_mul_u32_u24_e32 v210, 17, v84
	buffer_store_dword v0, off, s[24:27], 0 offset:16 ; 4-byte Folded Spill
	s_nop 0
	buffer_store_dword v1, off, s[24:27], 0 offset:20 ; 4-byte Folded Spill
	buffer_store_dword v2, off, s[24:27], 0 offset:24 ; 4-byte Folded Spill
	;; [unrolled: 1-line block ×3, first 2 shown]
	ds_write_b64 v216, v[44:45] offset:128
	s_and_saveexec_b64 s[4:5], s[0:1]
	s_cbranch_execz .LBB0_7
; %bb.6:
	v_mul_f32_e32 v201, 0xbe3c28d5, v98
	v_mov_b32_e32 v44, v201
	v_mul_f32_e32 v202, 0x3eb8f4ab, v100
	v_fmac_f32_e32 v44, 0xbf7ba420, v61
	v_mov_b32_e32 v45, v202
	v_add_f32_e32 v44, v44, v13
	v_fmac_f32_e32 v45, 0x3f6eb680, v68
	v_mul_f32_e32 v203, 0xbf06c442, v102
	v_add_f32_e32 v44, v45, v44
	v_mov_b32_e32 v45, v203
	v_fmac_f32_e32 v45, 0xbf59a7d5, v73
	v_mul_f32_e32 v204, 0x3f2c7751, v105
	v_add_f32_e32 v44, v45, v44
	v_mov_b32_e32 v45, v204
	;; [unrolled: 4-line block ×6, first 2 shown]
	v_fmac_f32_e32 v45, 0x3dbcf732, v52
	v_mov_b32_e32 v10, v63
	v_mul_f32_e32 v63, 0xbe3c28d5, v97
	v_add_f32_e32 v45, v45, v44
	v_fma_f32 v44, v60, s21, -v63
	v_mul_f32_e32 v205, 0x3eb8f4ab, v99
	v_add_f32_e32 v44, v44, v12
	v_fma_f32 v97, v62, s12, -v205
	;; [unrolled: 3-line block ×6, first 2 shown]
	v_mul_f32_e32 v157, 0xbf763a35, v157
	v_mov_b32_e32 v6, v249
	v_add_f32_e32 v44, v97, v44
	v_fma_f32 v97, v47, s18, -v157
	v_mul_f32_e32 v159, 0x3f7ee86f, v159
	v_mov_b32_e32 v7, v250
	v_mov_b32_e32 v8, v251
	;; [unrolled: 1-line block ×3, first 2 shown]
	v_mul_f32_e32 v249, 0xbf59a7d5, v61
	v_add_f32_e32 v44, v97, v44
	v_fma_f32 v97, v49, s15, -v159
	v_mov_b32_e32 v4, v172
	v_mul_f32_e32 v179, 0x3ee437d1, v68
	v_add_f32_e32 v44, v97, v44
	v_add_f32_e32 v97, v235, v249
	v_mov_b32_e32 v5, v173
	v_mul_f32_e32 v173, 0xbf59a7d5, v60
	v_mul_f32_e32 v193, 0x3dbcf732, v73
	v_add_f32_e32 v98, v234, v179
	v_add_f32_e32 v97, v97, v13
	v_mul_f32_e32 v240, 0x3ee437d1, v60
	v_mul_f32_e32 v178, 0x3ee437d1, v62
	v_add_f32_e32 v97, v98, v97
	v_add_f32_e32 v98, v233, v193
	v_sub_f32_e32 v226, v173, v226
	v_mul_f32_e32 v3, 0xbf1a4643, v60
	v_mul_f32_e32 v254, 0xbf1a4643, v62
	;; [unrolled: 1-line block ×3, first 2 shown]
	v_add_f32_e32 v97, v98, v97
	v_mul_f32_e32 v98, 0xbf1a4643, v80
	v_sub_f32_e32 v178, v178, v227
	v_add_f32_e32 v226, v226, v12
	v_sub_f32_e32 v76, v240, v76
	v_mul_f32_e32 v176, 0xbe8c1d8e, v62
	v_mul_f32_e32 v184, 0xbf7ba420, v70
	v_add_f32_e32 v98, v232, v98
	v_mul_f32_e32 v179, 0xbf1a4643, v77
	v_add_f32_e32 v178, v178, v226
	v_sub_f32_e32 v192, v192, v225
	v_sub_f32_e32 v161, v3, v161
	v_add_f32_e32 v76, v76, v12
	v_sub_f32_e32 v83, v254, v83
	v_mul_f32_e32 v172, 0xbf1a4643, v61
	v_mul_f32_e32 v190, 0x3f6eb680, v70
	;; [unrolled: 1-line block ×3, first 2 shown]
	v_add_f32_e32 v97, v98, v97
	v_mul_f32_e32 v98, 0x3f6eb680, v88
	v_add_f32_e32 v178, v192, v178
	v_sub_f32_e32 v179, v179, v224
	v_sub_f32_e32 v162, v176, v162
	v_add_f32_e32 v161, v161, v12
	v_add_f32_e32 v76, v83, v76
	v_sub_f32_e32 v83, v184, v91
	v_mul_f32_e32 v177, 0xbe8c1d8e, v68
	v_mul_f32_e32 v99, 0xbf59a7d5, v77
	v_add_f32_e32 v98, v231, v98
	v_mul_f32_e32 v231, 0x3f3d2fb0, v85
	v_add_f32_e32 v178, v179, v178
	;; [unrolled: 2-line block ×3, first 2 shown]
	v_add_f32_e32 v161, v162, v161
	v_sub_f32_e32 v163, v190, v163
	v_add_f32_e32 v76, v83, v76
	v_sub_f32_e32 v83, v198, v96
	v_mul_f32_e32 v191, 0x3f6eb680, v73
	v_sub_f32_e32 v179, v179, v223
	v_mul_f32_e32 v232, 0x3f6eb680, v50
	v_add_f32_e32 v169, v169, v177
	v_add_f32_e32 v171, v171, v13
	;; [unrolled: 1-line block ×3, first 2 shown]
	v_sub_f32_e32 v99, v99, v164
	v_add_f32_e32 v76, v83, v76
	v_sub_f32_e32 v83, v231, v103
	v_mul_f32_e32 v100, 0xbf59a7d5, v80
	v_add_f32_e32 v97, v98, v97
	v_mul_f32_e32 v98, 0xbf7ba420, v46
	v_add_f32_e32 v178, v179, v178
	;; [unrolled: 2-line block ×3, first 2 shown]
	v_add_f32_e32 v170, v170, v191
	v_mul_f32_e32 v233, 0x3dbcf732, v47
	v_add_f32_e32 v99, v99, v161
	v_mul_f32_e32 v161, 0xbf7ba420, v47
	v_add_f32_e32 v76, v83, v76
	v_sub_f32_e32 v83, v232, v106
	v_mul_f32_e32 v239, 0x3f3d2fb0, v61
	v_add_f32_e32 v98, v230, v98
	v_sub_f32_e32 v179, v179, v222
	v_mul_f32_e32 v222, 0x3dbcf732, v88
	v_add_f32_e32 v169, v170, v169
	v_add_f32_e32 v100, v211, v100
	v_sub_f32_e32 v161, v161, v167
	v_mul_f32_e32 v167, 0xbf59a7d5, v49
	v_add_f32_e32 v76, v83, v76
	v_sub_f32_e32 v83, v233, v113
	v_mul_f32_e32 v253, 0x3dbcf732, v68
	v_add_f32_e32 v97, v98, v97
	v_mul_f32_e32 v98, 0x3f3d2fb0, v48
	v_add_f32_e32 v178, v179, v178
	v_mul_f32_e32 v179, 0x3f3d2fb0, v47
	v_add_f32_e32 v100, v100, v169
	v_add_f32_e32 v212, v212, v222
	v_mul_f32_e32 v222, 0x3f3d2fb0, v46
	v_add_f32_e32 v76, v83, v76
	v_sub_f32_e32 v83, v167, v114
	v_add_f32_e32 v74, v74, v239
	v_mul_f32_e32 v183, 0xbf1a4643, v73
	v_add_f32_e32 v98, v229, v98
	v_sub_f32_e32 v179, v179, v221
	v_add_f32_e32 v100, v212, v100
	v_add_f32_e32 v217, v217, v222
	;; [unrolled: 1-line block ×5, first 2 shown]
	v_mul_f32_e32 v197, 0xbf7ba420, v80
	v_add_f32_e32 v97, v98, v97
	v_mul_f32_e32 v98, 0xbe8c1d8e, v52
	v_add_f32_e32 v178, v179, v178
	;; [unrolled: 2-line block ×4, first 2 shown]
	v_add_f32_e32 v76, v89, v183
	v_add_f32_e32 v98, v228, v98
	v_mul_f32_e32 v228, 0xbf59a7d5, v88
	v_mul_f32_e32 v223, 0x3dbcf732, v85
	v_sub_f32_e32 v179, v179, v220
	v_add_f32_e32 v217, v218, v217
	v_add_f32_e32 v74, v76, v74
	;; [unrolled: 1-line block ×5, first 2 shown]
	v_mul_f32_e32 v179, 0xbe8c1d8e, v46
	v_mul_f32_e32 v169, 0x3f3d2fb0, v50
	v_add_f32_e32 v100, v217, v100
	v_mul_f32_e32 v217, 0x3ee437d1, v52
	v_sub_f32_e32 v165, v223, v165
	v_add_f32_e32 v74, v76, v74
	v_add_f32_e32 v67, v67, v228
	;; [unrolled: 1-line block ×3, first 2 shown]
	v_mul_f32_e32 v219, 0x3ee437d1, v48
	v_add_f32_e32 v99, v165, v99
	v_sub_f32_e32 v166, v169, v166
	v_add_f32_e32 v67, v67, v74
	v_add_f32_e32 v57, v57, v179
	v_add_f32_e32 v99, v166, v99
	v_mul_f32_e32 v166, 0x3f6eb680, v52
	v_add_f32_e32 v57, v57, v67
	v_add_f32_e32 v67, v108, v219
	v_mul_f32_e32 v238, 0x3f3d2fb0, v60
	v_add_f32_e32 v57, v67, v57
	v_add_f32_e32 v67, v111, v166
	v_mul_f32_e32 v252, 0x3dbcf732, v62
	v_add_f32_e32 v67, v67, v57
	v_sub_f32_e32 v57, v238, v71
	v_mul_f32_e32 v182, 0xbf1a4643, v70
	v_add_f32_e32 v57, v57, v12
	v_sub_f32_e32 v71, v252, v78
	v_mul_f32_e32 v196, 0xbf7ba420, v77
	v_add_f32_e32 v57, v71, v57
	v_sub_f32_e32 v71, v182, v86
	v_mul_f32_e32 v229, 0xbf59a7d5, v85
	v_add_f32_e32 v57, v71, v57
	v_sub_f32_e32 v71, v196, v92
	v_mul_f32_e32 v178, 0xbe8c1d8e, v50
	v_add_f32_e32 v57, v71, v57
	v_sub_f32_e32 v66, v229, v66
	v_mul_f32_e32 v218, 0x3ee437d1, v47
	v_add_f32_e32 v57, v66, v57
	v_sub_f32_e32 v55, v178, v55
	v_mul_f32_e32 v169, 0x3f6eb680, v49
	v_add_f32_e32 v55, v55, v57
	v_sub_f32_e32 v57, v218, v59
	v_mul_f32_e32 v237, 0x3f6eb680, v61
	v_add_f32_e32 v55, v57, v55
	v_sub_f32_e32 v57, v169, v110
	v_mul_f32_e32 v251, 0x3f3d2fb0, v68
	v_add_f32_e32 v66, v57, v55
	v_add_f32_e32 v55, v10, v237
	v_mul_f32_e32 v181, 0x3ee437d1, v73
	v_add_f32_e32 v55, v55, v13
	v_add_f32_e32 v57, v75, v251
	v_add_f32_e32 v15, v15, v13
	v_add_f32_e32 v14, v14, v12
	v_mul_f32_e32 v195, 0x3dbcf732, v80
	v_add_f32_e32 v55, v57, v55
	v_add_f32_e32 v57, v82, v181
	;; [unrolled: 5-line block ×6, first 2 shown]
	v_add_f32_e32 v15, v33, v15
	v_add_f32_e32 v14, v32, v14
	v_mul_f32_e32 v236, 0x3f6eb680, v60
	v_mul_f32_e32 v241, 0x3ee437d1, v61
	;; [unrolled: 1-line block ×4, first 2 shown]
	v_add_f32_e32 v54, v55, v54
	v_add_f32_e32 v55, v107, v165
	;; [unrolled: 1-line block ×4, first 2 shown]
	v_mul_f32_e32 v242, 0x3dbcf732, v60
	v_mul_f32_e32 v1, 0xbe8c1d8e, v60
	;; [unrolled: 1-line block ×3, first 2 shown]
	v_add_f32_e32 v149, v149, v2
	v_add_f32_e32 v128, v128, v0
	;; [unrolled: 1-line block ×4, first 2 shown]
	v_sub_f32_e32 v55, v236, v214
	v_add_f32_e32 v15, v17, v15
	v_add_f32_e32 v14, v16, v14
	v_fma_f32 v16, v61, s21, -v201
	v_mul_f32_e32 v255, 0xbf1a4643, v68
	v_mul_f32_e32 v215, 0xbf7ba420, v62
	;; [unrolled: 1-line block ×6, first 2 shown]
	v_add_f32_e32 v149, v149, v13
	v_sub_f32_e32 v139, v1, v139
	v_add_f32_e32 v128, v128, v13
	v_sub_f32_e32 v123, v242, v123
	v_add_f32_e32 v115, v115, v13
	v_add_f32_e32 v55, v55, v12
	v_sub_f32_e32 v56, v250, v72
	v_add_f32_e32 v15, v19, v15
	v_add_f32_e32 v14, v18, v14
	;; [unrolled: 1-line block ×3, first 2 shown]
	v_fma_f32 v16, v68, s12, -v202
	v_fmac_f32_e32 v63, 0xbf7ba420, v60
	v_mul_f32_e32 v185, 0xbf7ba420, v73
	v_mul_f32_e32 v186, 0xbe8c1d8e, v70
	v_mul_f32_e32 v187, 0xbe8c1d8e, v73
	v_mul_f32_e32 v188, 0x3f3d2fb0, v70
	v_mul_f32_e32 v189, 0x3f3d2fb0, v73
	v_mul_f32_e32 v194, 0x3dbcf732, v77
	v_add_f32_e32 v150, v150, v175
	v_add_f32_e32 v139, v139, v12
	v_sub_f32_e32 v140, v174, v140
	v_add_f32_e32 v129, v129, v200
	v_add_f32_e32 v123, v123, v12
	v_sub_f32_e32 v124, v215, v124
	;; [unrolled: 3-line block ×3, first 2 shown]
	v_add_f32_e32 v15, v25, v15
	v_add_f32_e32 v14, v24, v14
	v_add_f32_e32 v13, v16, v13
	v_fma_f32 v16, v73, s20, -v203
	v_add_f32_e32 v12, v63, v12
	v_fmac_f32_e32 v205, 0x3f6eb680, v62
	v_mul_f32_e32 v199, 0xbe8c1d8e, v80
	v_mul_f32_e32 v104, 0x3f6eb680, v77
	v_mul_f32_e32 v105, 0x3f6eb680, v80
	v_mul_f32_e32 v101, 0x3ee437d1, v77
	v_mul_f32_e32 v102, 0x3ee437d1, v80
	v_mul_f32_e32 v193, 0xbe8c1d8e, v85
	v_add_f32_e32 v149, v150, v149
	v_add_f32_e32 v148, v148, v189
	v_add_f32_e32 v139, v140, v139
	v_sub_f32_e32 v140, v188, v141
	v_add_f32_e32 v128, v129, v128
	v_add_f32_e32 v129, v131, v187
	v_add_f32_e32 v123, v124, v123
	v_sub_f32_e32 v124, v186, v125
	;; [unrolled: 4-line block ×3, first 2 shown]
	v_add_f32_e32 v15, v27, v15
	v_add_f32_e32 v14, v26, v14
	;; [unrolled: 1-line block ×3, first 2 shown]
	v_fma_f32 v16, v80, s13, -v204
	v_add_f32_e32 v12, v205, v12
	v_fmac_f32_e32 v206, 0xbf59a7d5, v70
	v_mul_f32_e32 v227, 0x3f3d2fb0, v88
	v_mul_f32_e32 v226, 0x3ee437d1, v85
	;; [unrolled: 1-line block ×6, first 2 shown]
	v_add_f32_e32 v148, v148, v149
	v_add_f32_e32 v102, v151, v102
	v_add_f32_e32 v139, v140, v139
	v_sub_f32_e32 v101, v101, v142
	v_add_f32_e32 v128, v129, v128
	v_add_f32_e32 v105, v133, v105
	v_add_f32_e32 v123, v124, v123
	v_sub_f32_e32 v104, v104, v126
	;; [unrolled: 4-line block ×3, first 2 shown]
	v_add_f32_e32 v15, v37, v15
	v_add_f32_e32 v14, v36, v14
	;; [unrolled: 1-line block ×3, first 2 shown]
	v_fma_f32 v16, v88, s19, -v112
	v_add_f32_e32 v12, v206, v12
	v_fmac_f32_e32 v69, 0x3f3d2fb0, v77
	v_mul_f32_e32 v177, 0x3f6eb680, v46
	v_mul_f32_e32 v171, 0xbf59a7d5, v50
	;; [unrolled: 1-line block ×6, first 2 shown]
	v_add_f32_e32 v99, v161, v99
	v_mul_f32_e32 v161, 0x3ee437d1, v49
	v_add_f32_e32 v102, v102, v148
	v_add_f32_e32 v148, v152, v224
	v_add_f32_e32 v101, v101, v139
	v_sub_f32_e32 v139, v192, v143
	v_add_f32_e32 v105, v105, v128
	v_add_f32_e32 v128, v135, v225
	v_add_f32_e32 v104, v104, v123
	v_sub_f32_e32 v123, v226, v127
	;; [unrolled: 4-line block ×3, first 2 shown]
	v_add_f32_e32 v15, v39, v15
	v_add_f32_e32 v14, v38, v14
	;; [unrolled: 1-line block ×3, first 2 shown]
	v_fma_f32 v16, v46, s14, -v156
	v_add_f32_e32 v12, v69, v12
	v_fmac_f32_e32 v109, 0xbf1a4643, v85
	v_mul_f32_e32 v176, 0x3dbcf732, v48
	v_mul_f32_e32 v162, 0xbf1a4643, v47
	;; [unrolled: 1-line block ×6, first 2 shown]
	v_sub_f32_e32 v161, v161, v168
	v_add_f32_e32 v102, v148, v102
	v_add_f32_e32 v148, v153, v211
	v_add_f32_e32 v101, v139, v101
	v_sub_f32_e32 v139, v170, v144
	v_add_f32_e32 v105, v128, v105
	v_add_f32_e32 v128, v136, v191
	v_add_f32_e32 v104, v123, v104
	;; [unrolled: 4-line block ×4, first 2 shown]
	v_fma_f32 v16, v48, s18, -v158
	v_add_f32_e32 v12, v109, v12
	v_fmac_f32_e32 v147, 0x3ee437d1, v50
	v_mul_f32_e32 v168, 0xbf59a7d5, v52
	v_add_f32_e32 v100, v217, v100
	v_add_f32_e32 v99, v161, v99
	v_mul_f32_e32 v161, 0x3f3d2fb0, v49
	v_mul_f32_e32 v217, 0x3f3d2fb0, v52
	;; [unrolled: 1-line block ×4, first 2 shown]
	v_add_f32_e32 v102, v148, v102
	v_add_f32_e32 v148, v154, v164
	v_add_f32_e32 v101, v139, v101
	v_sub_f32_e32 v139, v163, v145
	v_add_f32_e32 v105, v128, v105
	v_add_f32_e32 v128, v137, v190
	v_add_f32_e32 v104, v123, v104
	v_sub_f32_e32 v123, v162, v132
	;; [unrolled: 4-line block ×3, first 2 shown]
	v_add_f32_e32 v15, v43, v15
	v_add_f32_e32 v14, v42, v14
	;; [unrolled: 1-line block ×3, first 2 shown]
	v_fma_f32 v16, v52, s15, -v160
	v_add_f32_e32 v12, v147, v12
	v_fmac_f32_e32 v157, 0xbe8c1d8e, v47
	v_add_f32_e32 v102, v148, v102
	v_add_f32_e32 v148, v155, v175
	;; [unrolled: 1-line block ×3, first 2 shown]
	v_sub_f32_e32 v139, v234, v146
	v_add_f32_e32 v105, v128, v105
	v_add_f32_e32 v128, v138, v217
	;; [unrolled: 1-line block ×3, first 2 shown]
	v_sub_f32_e32 v123, v161, v134
	v_add_f32_e32 v115, v116, v115
	v_add_f32_e32 v116, v122, v168
	;; [unrolled: 1-line block ×7, first 2 shown]
	v_fmac_f32_e32 v159, 0x3dbcf732, v49
	v_lshlrev_b32_e32 v16, 3, v210
	v_add_f32_e32 v102, v148, v102
	v_add_f32_e32 v101, v139, v101
	;; [unrolled: 1-line block ×6, first 2 shown]
	ds_write2_b64 v16, v[14:15], v[53:54] offset1:1
	ds_write2_b64 v16, v[66:67], v[114:115] offset0:2 offset1:3
	ds_write2_b64 v16, v[104:105], v[101:102] offset0:4 offset1:5
	;; [unrolled: 1-line block ×4, first 2 shown]
	buffer_load_dword v0, off, s[24:27], 0 offset:16 ; 4-byte Folded Reload
	buffer_load_dword v1, off, s[24:27], 0 offset:20 ; 4-byte Folded Reload
	;; [unrolled: 1-line block ×4, first 2 shown]
	v_mov_b32_e32 v173, v5
	v_mov_b32_e32 v252, v9
	;; [unrolled: 1-line block ×6, first 2 shown]
	s_waitcnt vmcnt(0)
	ds_write2_b64 v16, v[0:1], v[2:3] offset0:10 offset1:11
	buffer_load_dword v0, off, s[24:27], 0  ; 4-byte Folded Reload
	buffer_load_dword v1, off, s[24:27], 0 offset:4 ; 4-byte Folded Reload
	buffer_load_dword v2, off, s[24:27], 0 offset:8 ; 4-byte Folded Reload
	;; [unrolled: 1-line block ×3, first 2 shown]
	s_waitcnt vmcnt(0)
	ds_write2_b64 v16, v[0:1], v[2:3] offset0:12 offset1:13
	ds_write2_b64 v16, v[249:250], v[251:252] offset0:14 offset1:15
	ds_write_b64 v16, v[4:5] offset:128
.LBB0_7:
	s_or_b64 exec, exec, s[4:5]
	s_movk_i32 s5, 0xf1
	v_mul_lo_u16_sdwa v12, v207, s5 dst_sel:DWORD dst_unused:UNUSED_PAD src0_sel:BYTE_0 src1_sel:DWORD
	v_lshrrev_b16_e32 v91, 12, v12
	v_mul_lo_u16_e32 v12, 17, v91
	v_sub_u16_e32 v95, v207, v12
	v_mul_lo_u16_sdwa v16, v84, s5 dst_sel:DWORD dst_unused:UNUSED_PAD src0_sel:BYTE_0 src1_sel:DWORD
	v_add_co_u32_e32 v88, vcc, 0x66, v207
	v_lshlrev_b16_e32 v12, 1, v95
	v_lshrrev_b16_e32 v99, 12, v16
	s_movk_i32 s4, 0x99
	v_and_b32_e32 v12, 0xfe, v12
	v_mul_lo_u16_e32 v16, 17, v99
	v_mul_lo_u16_sdwa v20, v88, s5 dst_sel:DWORD dst_unused:UNUSED_PAD src0_sel:BYTE_0 src1_sel:DWORD
	v_add_co_u32_e32 v92, vcc, s4, v207
	s_movk_i32 s4, 0xcc
	v_lshlrev_b32_e32 v12, 3, v12
	v_sub_u16_e32 v16, v84, v16
	v_lshrrev_b16_e32 v107, 12, v20
	s_waitcnt lgkmcnt(0)
	; wave barrier
	s_waitcnt lgkmcnt(0)
	v_add_co_u32_e32 v96, vcc, s4, v207
	s_movk_i32 s4, 0xff
	global_load_dwordx4 v[217:220], v12, s[2:3]
	v_and_b32_e32 v103, 0xff, v16
	v_mul_lo_u16_e32 v20, 17, v107
	v_mul_lo_u16_sdwa v24, v92, s5 dst_sel:DWORD dst_unused:UNUSED_PAD src0_sel:BYTE_0 src1_sel:DWORD
	v_add_co_u32_e32 v100, vcc, s4, v207
	s_movk_i32 s4, 0x132
	v_lshlrev_b32_e32 v16, 4, v103
	global_load_dwordx4 v[16:19], v16, s[2:3]
	v_sub_u16_e32 v20, v88, v20
	v_lshrrev_b16_e32 v129, 12, v24
	v_add_co_u32_e32 v104, vcc, s4, v207
	s_movk_i32 s4, 0x165
	v_and_b32_e32 v111, 0xff, v20
	v_mul_lo_u16_e32 v24, 17, v129
	v_mul_lo_u16_sdwa v28, v96, s5 dst_sel:DWORD dst_unused:UNUSED_PAD src0_sel:BYTE_0 src1_sel:DWORD
	v_lshlrev_b32_e32 v20, 4, v111
	v_sub_u16_e32 v24, v92, v24
	v_add_co_u32_e32 v108, vcc, s4, v207
	v_lshrrev_b16_e32 v131, 12, v28
	s_mov_b32 s4, 0xf0f1
	global_load_dwordx4 v[20:23], v20, s[2:3]
	v_and_b32_e32 v130, 0xff, v24
	v_mul_lo_u16_e32 v28, 17, v131
	v_mul_u32_u24_sdwa v32, v100, s4 dst_sel:DWORD dst_unused:UNUSED_PAD src0_sel:WORD_0 src1_sel:DWORD
	v_lshlrev_b32_e32 v24, 4, v130
	global_load_dwordx4 v[24:27], v24, s[2:3]
	v_sub_u16_e32 v28, v96, v28
	v_lshrrev_b32_e32 v133, 20, v32
	v_and_b32_e32 v132, 0xff, v28
	v_mul_lo_u16_e32 v32, 17, v133
	v_mul_u32_u24_sdwa v36, v104, s4 dst_sel:DWORD dst_unused:UNUSED_PAD src0_sel:WORD_0 src1_sel:DWORD
	v_lshlrev_b32_e32 v28, 4, v132
	v_sub_u16_e32 v134, v100, v32
	v_lshrrev_b32_e32 v135, 20, v36
	global_load_dwordx4 v[28:31], v28, s[2:3]
	v_lshlrev_b16_e32 v32, 1, v134
	s_movk_i32 s5, 0x198
	v_mul_lo_u16_e32 v36, 17, v135
	v_mul_u32_u24_sdwa v40, v108, s4 dst_sel:DWORD dst_unused:UNUSED_PAD src0_sel:WORD_0 src1_sel:DWORD
	v_lshlrev_b32_e32 v32, 3, v32
	global_load_dwordx4 v[32:35], v32, s[2:3]
	v_sub_u16_e32 v138, v104, v36
	v_lshrrev_b32_e32 v139, 20, v40
	v_add_co_u32_e32 v112, vcc, s5, v207
	v_lshlrev_b16_e32 v36, 1, v138
	v_mul_lo_u16_e32 v40, 17, v139
	v_mul_u32_u24_sdwa v44, v112, s4 dst_sel:DWORD dst_unused:UNUSED_PAD src0_sel:WORD_0 src1_sel:DWORD
	v_lshlrev_b32_e32 v36, 3, v36
	v_sub_u16_e32 v142, v108, v40
	v_lshrrev_b32_e32 v143, 20, v44
	global_load_dwordx4 v[36:39], v36, s[2:3]
	v_lshlrev_b16_e32 v40, 1, v142
	v_mul_lo_u16_e32 v44, 17, v143
	v_lshlrev_b32_e32 v40, 3, v40
	global_load_dwordx4 v[40:43], v40, s[2:3]
	v_sub_u16_e32 v144, v112, v44
	v_lshlrev_b16_e32 v44, 1, v144
	v_lshlrev_b32_e32 v44, 3, v44
	global_load_dwordx4 v[44:47], v44, s[2:3]
	v_add_u32_e32 v137, 0x800, v213
	ds_read2_b64 v[48:51], v137 offset0:152 offset1:203
	v_add_u32_e32 v136, 0x1800, v213
	ds_read2_b64 v[56:59], v136 offset0:150 offset1:201
	v_add_u32_e32 v140, 0xc00, v213
	ds_read2_b64 v[52:55], v213 offset1:51
	ds_read2_b64 v[60:63], v140 offset0:126 offset1:177
	ds_read2_b64 v[64:67], v213 offset0:102 offset1:153
	v_add_u32_e32 v156, 0x1c00, v213
	ds_read2_b64 v[68:71], v156 offset0:124 offset1:175
	v_add_u32_e32 v141, 0x1000, v213
	ds_read2_b64 v[72:75], v141 offset0:100 offset1:151
	ds_read2_b64 v[76:79], v213 offset0:204 offset1:255
	v_add_u32_e32 v164, 0x2000, v213
	ds_read2_b64 v[80:83], v164 offset0:98 offset1:149
	ds_read2_b64 v[113:116], v141 offset0:202 offset1:253
	;; [unrolled: 1-line block ×5, first 2 shown]
	ds_read_b64 v[85:86], v213 offset:10608
	v_mad_legacy_u16 v91, v91, 51, v95
	s_waitcnt lgkmcnt(0)
	; wave barrier
	s_waitcnt lgkmcnt(0)
	s_movk_i32 s4, 0xa1
	s_waitcnt vmcnt(8)
	v_mul_f32_e32 v87, v51, v218
	v_fma_f32 v87, v50, v217, -v87
	v_mul_f32_e32 v89, v50, v218
	v_mul_f32_e32 v50, v57, v220
	v_fma_f32 v90, v56, v219, -v50
	v_fmac_f32_e32 v89, v51, v217
	v_mul_f32_e32 v93, v56, v220
	v_add_f32_e32 v51, v87, v90
	s_waitcnt vmcnt(7)
	v_mul_f32_e32 v50, v61, v17
	v_fma_f32 v94, v60, v16, -v50
	v_mul_f32_e32 v97, v60, v17
	v_mul_f32_e32 v50, v59, v19
	v_fmac_f32_e32 v97, v61, v16
	v_fma_f32 v61, v58, v18, -v50
	v_fmac_f32_e32 v93, v57, v219
	v_add_f32_e32 v57, v89, v93
	v_mul_f32_e32 v98, v58, v19
	v_fmac_f32_e32 v98, v59, v18
	v_sub_f32_e32 v58, v87, v90
	v_add_f32_e32 v59, v94, v61
	v_lshlrev_b32_e32 v84, 4, v84
	v_lshlrev_b32_e32 v92, 4, v92
	;; [unrolled: 1-line block ×3, first 2 shown]
	s_waitcnt vmcnt(6)
	v_mul_f32_e32 v50, v63, v21
	v_fma_f32 v101, v62, v20, -v50
	v_mul_f32_e32 v50, v69, v23
	v_fma_f32 v105, v68, v22, -v50
	v_mul_f32_e32 v102, v62, v21
	s_waitcnt vmcnt(5)
	v_mul_f32_e32 v50, v73, v25
	v_fma_f32 v109, v72, v24, -v50
	v_mul_f32_e32 v110, v72, v25
	v_mul_f32_e32 v50, v71, v27
	v_fmac_f32_e32 v110, v73, v24
	v_fma_f32 v73, v70, v26, -v50
	v_add_f32_e32 v62, v97, v98
	v_fmac_f32_e32 v102, v63, v20
	v_mul_f32_e32 v106, v68, v23
	s_waitcnt vmcnt(4)
	v_mul_f32_e32 v50, v75, v29
	v_fma_f32 v146, v74, v28, -v50
	v_mul_f32_e32 v50, v81, v31
	v_fma_f32 v148, v80, v30, -v50
	v_add_f32_e32 v63, v101, v105
	v_fmac_f32_e32 v106, v69, v22
	s_waitcnt vmcnt(3)
	v_mul_f32_e32 v50, v114, v33
	v_fma_f32 v150, v113, v32, -v50
	v_mul_f32_e32 v113, v113, v33
	v_mul_f32_e32 v50, v83, v35
	v_fmac_f32_e32 v113, v114, v32
	v_fma_f32 v114, v82, v34, -v50
	v_add_f32_e32 v69, v102, v106
	v_mul_f32_e32 v145, v70, v27
	v_fmac_f32_e32 v145, v71, v26
	v_sub_f32_e32 v70, v101, v105
	v_add_f32_e32 v71, v109, v73
	s_waitcnt vmcnt(2)
	v_mul_f32_e32 v50, v116, v37
	v_fma_f32 v152, v115, v36, -v50
	v_mul_f32_e32 v115, v115, v37
	v_mul_f32_e32 v50, v122, v39
	v_fmac_f32_e32 v115, v116, v36
	v_fma_f32 v116, v121, v38, -v50
	v_mul_f32_e32 v121, v121, v39
	s_waitcnt vmcnt(1)
	v_mul_f32_e32 v50, v126, v41
	v_fmac_f32_e32 v121, v122, v38
	v_fma_f32 v122, v125, v40, -v50
	v_mul_f32_e32 v125, v125, v41
	v_mul_f32_e32 v50, v124, v43
	v_fmac_f32_e32 v125, v126, v40
	v_fma_f32 v126, v123, v42, -v50
	v_mul_f32_e32 v123, v123, v43
	s_waitcnt vmcnt(0)
	v_mul_f32_e32 v50, v128, v45
	v_fmac_f32_e32 v123, v124, v42
	v_fma_f32 v124, v127, v44, -v50
	v_mul_f32_e32 v127, v127, v45
	v_mul_f32_e32 v50, v86, v47
	v_fmac_f32_e32 v127, v128, v44
	v_fma_f32 v128, v85, v46, -v50
	v_add_f32_e32 v50, v52, v87
	v_fma_f32 v52, -0.5, v51, v52
	v_sub_f32_e32 v51, v89, v93
	v_mov_b32_e32 v56, v52
	v_fmac_f32_e32 v56, 0x3f5db3d7, v51
	v_fmac_f32_e32 v52, 0xbf5db3d7, v51
	v_add_f32_e32 v51, v53, v89
	v_fma_f32 v53, -0.5, v57, v53
	v_mov_b32_e32 v57, v53
	v_fmac_f32_e32 v57, 0xbf5db3d7, v58
	v_fmac_f32_e32 v53, 0x3f5db3d7, v58
	v_add_f32_e32 v58, v54, v94
	v_fma_f32 v54, -0.5, v59, v54
	v_sub_f32_e32 v59, v97, v98
	v_mov_b32_e32 v60, v54
	v_fmac_f32_e32 v60, 0x3f5db3d7, v59
	v_fmac_f32_e32 v54, 0xbf5db3d7, v59
	v_add_f32_e32 v59, v55, v97
	v_fmac_f32_e32 v55, -0.5, v62
	v_add_f32_e32 v58, v58, v61
	v_sub_f32_e32 v62, v94, v61
	v_mov_b32_e32 v61, v55
	v_fmac_f32_e32 v61, 0xbf5db3d7, v62
	v_fmac_f32_e32 v55, 0x3f5db3d7, v62
	v_add_f32_e32 v62, v64, v101
	v_fma_f32 v64, -0.5, v63, v64
	v_sub_f32_e32 v63, v102, v106
	v_mov_b32_e32 v68, v64
	v_fmac_f32_e32 v68, 0x3f5db3d7, v63
	v_fmac_f32_e32 v64, 0xbf5db3d7, v63
	v_add_f32_e32 v63, v65, v102
	v_fma_f32 v65, -0.5, v69, v65
	v_mov_b32_e32 v69, v65
	v_fmac_f32_e32 v69, 0xbf5db3d7, v70
	v_fmac_f32_e32 v65, 0x3f5db3d7, v70
	v_add_f32_e32 v70, v66, v109
	v_fma_f32 v66, -0.5, v71, v66
	v_mul_f32_e32 v147, v74, v29
	v_sub_f32_e32 v71, v110, v145
	v_mov_b32_e32 v72, v66
	v_add_f32_e32 v74, v110, v145
	v_fmac_f32_e32 v72, 0x3f5db3d7, v71
	v_fmac_f32_e32 v66, 0xbf5db3d7, v71
	v_add_f32_e32 v71, v67, v110
	v_fmac_f32_e32 v67, -0.5, v74
	v_add_f32_e32 v94, v115, v121
	v_fmac_f32_e32 v147, v75, v28
	v_mul_f32_e32 v149, v80, v31
	v_add_f32_e32 v70, v70, v73
	v_sub_f32_e32 v74, v109, v73
	v_mov_b32_e32 v73, v67
	v_add_f32_e32 v75, v146, v148
	v_fma_f32 v94, -0.5, v94, v118
	v_fmac_f32_e32 v149, v81, v30
	v_add_f32_e32 v59, v59, v98
	v_fmac_f32_e32 v73, 0xbf5db3d7, v74
	v_fmac_f32_e32 v67, 0x3f5db3d7, v74
	v_add_f32_e32 v74, v76, v146
	v_fma_f32 v76, -0.5, v75, v76
	v_sub_f32_e32 v101, v152, v116
	v_mov_b32_e32 v98, v94
	v_add_f32_e32 v102, v122, v126
	v_sub_f32_e32 v75, v147, v149
	v_mov_b32_e32 v80, v76
	v_add_f32_e32 v81, v147, v149
	v_fmac_f32_e32 v98, 0xbf5db3d7, v101
	v_fmac_f32_e32 v94, 0x3f5db3d7, v101
	v_add_f32_e32 v101, v119, v122
	v_fma_f32 v119, -0.5, v102, v119
	v_mul_f32_e32 v151, v82, v35
	v_add_f32_e32 v62, v62, v105
	v_add_f32_e32 v63, v63, v106
	v_fmac_f32_e32 v80, 0x3f5db3d7, v75
	v_fmac_f32_e32 v76, 0xbf5db3d7, v75
	v_add_f32_e32 v75, v77, v147
	v_fma_f32 v77, -0.5, v81, v77
	v_sub_f32_e32 v102, v125, v123
	v_mov_b32_e32 v105, v119
	v_add_f32_e32 v106, v125, v123
	v_fmac_f32_e32 v151, v83, v34
	v_sub_f32_e32 v82, v146, v148
	v_mov_b32_e32 v81, v77
	v_add_f32_e32 v83, v150, v114
	v_fmac_f32_e32 v105, 0x3f5db3d7, v102
	v_fmac_f32_e32 v119, 0xbf5db3d7, v102
	v_add_f32_e32 v102, v120, v125
	v_fmac_f32_e32 v120, -0.5, v106
	v_mul_f32_e32 v85, v85, v47
	v_fmac_f32_e32 v81, 0xbf5db3d7, v82
	v_fmac_f32_e32 v77, 0x3f5db3d7, v82
	v_add_f32_e32 v82, v78, v150
	v_fma_f32 v78, -0.5, v83, v78
	v_sub_f32_e32 v109, v122, v126
	v_mov_b32_e32 v106, v120
	v_add_f32_e32 v110, v124, v128
	v_fmac_f32_e32 v85, v86, v46
	v_sub_f32_e32 v83, v113, v151
	v_mov_b32_e32 v86, v78
	v_fmac_f32_e32 v106, 0xbf5db3d7, v109
	v_fmac_f32_e32 v120, 0x3f5db3d7, v109
	v_add_f32_e32 v109, v48, v124
	v_fma_f32 v48, -0.5, v110, v48
	v_fmac_f32_e32 v86, 0x3f5db3d7, v83
	v_fmac_f32_e32 v78, 0xbf5db3d7, v83
	v_add_f32_e32 v83, v79, v113
	v_add_f32_e32 v87, v113, v151
	v_sub_f32_e32 v110, v127, v85
	v_mov_b32_e32 v113, v48
	v_fmac_f32_e32 v113, 0x3f5db3d7, v110
	v_fmac_f32_e32 v48, 0xbf5db3d7, v110
	v_add_f32_e32 v110, v49, v127
	v_add_f32_e32 v110, v110, v85
	;; [unrolled: 1-line block ×3, first 2 shown]
	v_fmac_f32_e32 v49, -0.5, v85
	v_add_f32_e32 v82, v82, v114
	v_sub_f32_e32 v89, v150, v114
	v_sub_f32_e32 v85, v124, v128
	v_mov_b32_e32 v114, v49
	v_fmac_f32_e32 v114, 0xbf5db3d7, v85
	v_fmac_f32_e32 v49, 0x3f5db3d7, v85
	v_mov_b32_e32 v85, 3
	v_add_f32_e32 v50, v50, v90
	v_add_f32_e32 v51, v51, v93
	v_lshlrev_b32_sdwa v204, v85, v91 dst_sel:DWORD dst_unused:UNUSED_PAD src0_sel:DWORD src1_sel:BYTE_0
	ds_write2_b64 v204, v[50:51], v[56:57] offset1:17
	ds_write_b64 v204, v[52:53] offset:272
	v_mul_u32_u24_e32 v50, 51, v99
	v_add_lshl_u32 v205, v50, v103, 3
	v_mul_u32_u24_e32 v50, 51, v107
	v_add_lshl_u32 v0, v50, v111, 3
	;; [unrolled: 2-line block ×3, first 2 shown]
	v_mul_u32_u24_e32 v50, 51, v131
	v_add_f32_e32 v90, v152, v116
	v_add_lshl_u32 v215, v50, v132, 3
	v_mad_legacy_u16 v50, v133, 51, v134
	v_fmac_f32_e32 v79, -0.5, v87
	v_fma_f32 v93, -0.5, v90, v117
	v_lshlrev_b32_e32 v221, 3, v50
	v_mad_legacy_u16 v50, v135, 51, v138
	v_mov_b32_e32 v87, v79
	v_sub_f32_e32 v90, v115, v121
	v_mov_b32_e32 v97, v93
	v_lshlrev_b32_e32 v222, 3, v50
	v_mad_legacy_u16 v50, v139, 51, v142
	v_fmac_f32_e32 v87, 0xbf5db3d7, v89
	v_fmac_f32_e32 v79, 0x3f5db3d7, v89
	v_add_f32_e32 v89, v117, v152
	v_fmac_f32_e32 v97, 0x3f5db3d7, v90
	v_fmac_f32_e32 v93, 0xbf5db3d7, v90
	v_add_f32_e32 v90, v118, v115
	v_lshlrev_b32_e32 v223, 3, v50
	v_mad_legacy_u16 v50, v143, 51, v144
	v_add_f32_e32 v71, v71, v145
	v_add_f32_e32 v74, v74, v148
	;; [unrolled: 1-line block ×9, first 2 shown]
	v_lshlrev_b32_e32 v224, 3, v50
	ds_write2_b64 v205, v[58:59], v[60:61] offset1:17
	ds_write_b64 v205, v[54:55] offset:272
	ds_write2_b64 v0, v[62:63], v[68:69] offset1:17
	buffer_store_dword v0, off, s[24:27], 0 offset:152 ; 4-byte Folded Spill
	ds_write_b64 v0, v[64:65] offset:272
	ds_write2_b64 v214, v[70:71], v[72:73] offset1:17
	ds_write_b64 v214, v[66:67] offset:272
	ds_write2_b64 v215, v[74:75], v[80:81] offset1:17
	;; [unrolled: 2-line block ×6, first 2 shown]
	ds_write_b64 v224, v[48:49] offset:272
	v_lshlrev_b32_e32 v48, 6, v207
	s_waitcnt lgkmcnt(0)
	; wave barrier
	s_waitcnt lgkmcnt(0)
	global_load_dwordx4 v[60:63], v48, s[2:3] offset:272
	global_load_dwordx4 v[56:59], v48, s[2:3] offset:288
	global_load_dwordx4 v[52:55], v48, s[2:3] offset:304
	s_nop 0
	global_load_dwordx4 v[48:51], v48, s[2:3] offset:320
	v_mul_lo_u16_sdwa v64, v88, s4 dst_sel:DWORD dst_unused:UNUSED_PAD src0_sel:BYTE_0 src1_sel:DWORD
	v_lshrrev_b16_e32 v64, 13, v64
	v_mul_lo_u16_e32 v64, 51, v64
	v_sub_u16_e32 v86, v88, v64
	v_mov_b32_e32 v64, 6
	v_lshlrev_b32_sdwa v72, v64, v86 dst_sel:DWORD dst_unused:UNUSED_PAD src0_sel:DWORD src1_sel:BYTE_0
	ds_read2_b64 v[113:116], v213 offset1:51
	global_load_dwordx4 v[68:71], v72, s[2:3] offset:288
	global_load_dwordx4 v[76:79], v72, s[2:3] offset:272
	ds_read2_b64 v[80:83], v213 offset0:102 offset1:153
	ds_read2_b64 v[117:120], v137 offset0:50 offset1:101
	;; [unrolled: 1-line block ×12, first 2 shown]
	ds_read_b64 v[89:90], v213 offset:10608
	global_load_dwordx4 v[64:67], v72, s[2:3] offset:320
	s_nop 0
	global_load_dwordx4 v[72:75], v72, s[2:3] offset:304
	s_mov_b32 s4, 0xbf248dbb
	v_lshlrev_b32_sdwa v225, v85, v86 dst_sel:DWORD dst_unused:UNUSED_PAD src0_sel:DWORD src1_sel:BYTE_0
	s_waitcnt lgkmcnt(0)
	; wave barrier
	s_waitcnt lgkmcnt(0)
	v_lshlrev_b32_e32 v88, 4, v88
	v_lshlrev_b32_e32 v100, 4, v100
	v_lshlrev_b32_e32 v104, 4, v104
	v_lshlrev_b32_e32 v108, 4, v108
	v_lshlrev_b32_e32 v112, 4, v112
	s_movk_i32 s5, 0x1000
	s_waitcnt vmcnt(7)
	v_mul_f32_e32 v109, v158, v61
	s_waitcnt vmcnt(6)
	v_mul_f32_e32 v94, v123, v57
	v_fma_f32 v111, v157, v60, -v109
	v_mul_f32_e32 v109, v120, v63
	v_mul_f32_e32 v93, v124, v57
	v_fmac_f32_e32 v94, v124, v56
	v_fma_f32 v124, v119, v62, -v109
	v_mul_f32_e32 v119, v119, v63
	v_mul_f32_e32 v109, v166, v57
	s_waitcnt vmcnt(5)
	v_mul_f32_e32 v97, v132, v53
	v_fmac_f32_e32 v119, v120, v62
	v_fma_f32 v120, v165, v56, -v109
	v_mul_f32_e32 v109, v128, v59
	v_fma_f32 v103, v131, v52, -v97
	v_mul_f32_e32 v107, v131, v53
	;; [unrolled: 2-line block ×3, first 2 shown]
	v_mul_f32_e32 v99, v125, v59
	v_fma_f32 v133, v226, v52, -v109
	v_mul_f32_e32 v109, v145, v55
	v_mul_f32_e32 v95, v126, v59
	v_fmac_f32_e32 v99, v126, v58
	v_fmac_f32_e32 v107, v132, v52
	v_mul_f32_e32 v132, v127, v59
	v_fma_f32 v126, v144, v54, -v109
	s_waitcnt vmcnt(4)
	v_mul_f32_e32 v109, v231, v49
	v_fmac_f32_e32 v132, v128, v58
	v_fma_f32 v128, v230, v48, -v109
	v_mul_f32_e32 v109, v153, v51
	v_mul_f32_e32 v97, v143, v55
	v_fma_f32 v138, v152, v50, -v109
	s_waitcnt vmcnt(2)
	v_mul_f32_e32 v109, v160, v77
	v_fma_f32 v97, v142, v54, -v97
	v_mul_f32_e32 v98, v142, v55
	v_fma_f32 v142, v159, v76, -v109
	v_mul_f32_e32 v109, v122, v79
	v_mul_f32_e32 v101, v149, v49
	;; [unrolled: 1-line block ×3, first 2 shown]
	v_fma_f32 v144, v121, v78, -v109
	v_mul_f32_e32 v109, v168, v69
	v_fma_f32 v101, v148, v48, -v101
	v_mul_f32_e32 v102, v148, v49
	;; [unrolled: 2-line block ×3, first 2 shown]
	v_mul_f32_e32 v139, v152, v51
	v_fma_f32 v152, v129, v70, -v109
	s_waitcnt vmcnt(0)
	v_mul_f32_e32 v109, v229, v73
	v_mul_f32_e32 v87, v83, v61
	;; [unrolled: 1-line block ×3, first 2 shown]
	v_fma_f32 v154, v228, v72, -v109
	v_mul_f32_e32 v109, v147, v75
	v_fma_f32 v87, v82, v60, -v87
	v_mul_f32_e32 v82, v82, v61
	;; [unrolled: 2-line block ×4, first 2 shown]
	v_mul_f32_e32 v109, v233, v65
	v_fmac_f32_e32 v82, v83, v60
	v_mul_f32_e32 v83, v118, v63
	v_mul_f32_e32 v91, v117, v63
	v_fma_f32 v93, v123, v56, -v93
	v_fmac_f32_e32 v106, v151, v50
	v_mul_f32_e32 v123, v157, v61
	v_fmac_f32_e32 v146, v147, v74
	v_fma_f32 v147, v232, v64, -v109
	v_mul_f32_e32 v109, v90, v67
	v_fma_f32 v83, v117, v62, -v83
	v_fmac_f32_e32 v91, v118, v62
	v_fmac_f32_e32 v102, v149, v48
	;; [unrolled: 1-line block ×4, first 2 shown]
	v_mul_f32_e32 v145, v121, v79
	v_fma_f32 v157, v89, v66, -v109
	v_mul_f32_e32 v158, v89, v67
	v_add_f32_e32 v117, v87, v105
	v_sub_f32_e32 v87, v87, v105
	v_sub_f32_e32 v109, v82, v106
	v_fmac_f32_e32 v98, v143, v54
	v_mul_f32_e32 v143, v159, v77
	v_fmac_f32_e32 v145, v122, v78
	v_fmac_f32_e32 v158, v90, v66
	v_add_f32_e32 v122, v91, v102
	v_sub_f32_e32 v110, v83, v101
	v_sub_f32_e32 v91, v91, v102
	v_mul_f32_e32 v90, 0x3f248dbb, v87
	v_mul_f32_e32 v89, 0x3f248dbb, v109
	v_sub_f32_e32 v162, v99, v107
	v_fma_f32 v95, v125, v58, -v95
	v_fmac_f32_e32 v139, v153, v50
	v_fmac_f32_e32 v143, v160, v76
	v_mul_f32_e32 v153, v129, v71
	v_add_f32_e32 v129, v93, v97
	v_sub_f32_e32 v159, v93, v97
	v_sub_f32_e32 v160, v94, v98
	v_fmac_f32_e32 v90, 0x3f7c1c5c, v110
	v_fmac_f32_e32 v89, 0x3f7c1c5c, v91
	v_mul_f32_e32 v97, 0xbf248dbb, v162
	v_fmac_f32_e32 v90, 0x3f5db3d7, v159
	v_fmac_f32_e32 v89, 0x3f5db3d7, v160
	v_sub_f32_e32 v161, v95, v103
	v_fmac_f32_e32 v97, 0x3f7c1c5c, v109
	v_fmac_f32_e32 v153, v130, v70
	v_add_f32_e32 v121, v83, v101
	v_add_f32_e32 v130, v94, v98
	v_fmac_f32_e32 v90, 0x3eaf1d44, v161
	v_fmac_f32_e32 v89, 0x3eaf1d44, v162
	v_mul_f32_e32 v98, 0xbf248dbb, v161
	v_fmac_f32_e32 v97, 0xbf5db3d7, v160
	v_add_f32_e32 v101, v161, v87
	v_add_f32_e32 v102, v162, v109
	v_mul_f32_e32 v161, 0x3f7c1c5c, v161
	v_mul_f32_e32 v162, 0x3f7c1c5c, v162
	;; [unrolled: 1-line block ×3, first 2 shown]
	v_add_f32_e32 v118, v82, v106
	v_fmac_f32_e32 v97, 0x3eaf1d44, v91
	v_sub_f32_e32 v106, v102, v91
	v_fma_f32 v161, v110, s4, -v161
	v_fma_f32 v91, v91, s4, -v162
	v_fmac_f32_e32 v149, v168, v68
	v_add_f32_e32 v168, v121, v117
	v_add_f32_e32 v169, v122, v118
	v_fmac_f32_e32 v161, 0x3f5db3d7, v159
	v_fmac_f32_e32 v91, 0x3f5db3d7, v160
	;; [unrolled: 1-line block ×5, first 2 shown]
	v_add_f32_e32 v87, v129, v168
	v_add_f32_e32 v109, v130, v169
	v_add_f32_e32 v163, v95, v103
	v_add_f32_e32 v87, v95, v87
	v_add_f32_e32 v95, v99, v109
	v_fmac_f32_e32 v98, 0xbf5db3d7, v159
	v_add_f32_e32 v87, v103, v87
	v_add_f32_e32 v95, v107, v95
	v_mul_f32_e32 v125, v165, v57
	v_mov_b32_e32 v82, v113
	v_mov_b32_e32 v83, v114
	v_add_f32_e32 v165, v99, v107
	v_fmac_f32_e32 v98, 0x3eaf1d44, v110
	v_mov_b32_e32 v93, v113
	v_mov_b32_e32 v94, v114
	v_sub_f32_e32 v105, v101, v110
	v_add_f32_e32 v101, v129, v113
	v_add_f32_e32 v102, v130, v114
	;; [unrolled: 1-line block ×4, first 2 shown]
	v_fmac_f32_e32 v113, 0x3f441b7d, v121
	v_fmac_f32_e32 v114, 0x3f441b7d, v122
	;; [unrolled: 1-line block ×5, first 2 shown]
	v_fmac_f32_e32 v113, -0.5, v129
	v_fmac_f32_e32 v114, -0.5, v130
	v_fmac_f32_e32 v93, 0x3f441b7d, v163
	v_fmac_f32_e32 v94, 0x3e31d0d4, v118
	;; [unrolled: 1-line block ×4, first 2 shown]
	v_mul_f32_e32 v134, v226, v53
	v_mul_f32_e32 v135, v230, v49
	v_fmac_f32_e32 v83, 0x3f441b7d, v118
	v_fmac_f32_e32 v93, 0x3e31d0d4, v117
	v_fmac_f32_e32 v94, -0.5, v130
	v_add_f32_e32 v113, v91, v113
	v_sub_f32_e32 v114, v114, v161
	v_add_f32_e32 v87, v111, v138
	v_sub_f32_e32 v111, v111, v138
	v_fmac_f32_e32 v134, v227, v52
	v_fmac_f32_e32 v135, v231, v48
	v_fmac_f32_e32 v82, 0x3f441b7d, v117
	v_fmac_f32_e32 v83, 0x3e31d0d4, v122
	v_fmac_f32_e32 v93, -0.5, v129
	v_fmac_f32_e32 v94, 0xbf708fb2, v122
	v_fma_f32 v117, -2.0, v91, v113
	v_fma_f32 v118, 2.0, v161, v114
	v_add_f32_e32 v91, v123, v139
	v_sub_f32_e32 v138, v123, v139
	v_sub_f32_e32 v139, v124, v128
	v_mul_f32_e32 v122, 0x3f248dbb, v111
	v_sub_f32_e32 v161, v131, v133
	v_fmac_f32_e32 v125, v166, v56
	v_fmac_f32_e32 v82, 0x3e31d0d4, v121
	;; [unrolled: 1-line block ×3, first 2 shown]
	v_add_f32_e32 v99, v119, v135
	v_add_f32_e32 v103, v120, v126
	v_sub_f32_e32 v135, v119, v135
	v_sub_f32_e32 v159, v120, v126
	v_mul_f32_e32 v121, 0x3f248dbb, v138
	v_fmac_f32_e32 v122, 0x3f7c1c5c, v139
	v_sub_f32_e32 v162, v132, v134
	v_mul_f32_e32 v126, 0xbf248dbb, v161
	v_add_f32_e32 v107, v125, v127
	v_sub_f32_e32 v160, v125, v127
	v_fmac_f32_e32 v121, 0x3f7c1c5c, v135
	v_fmac_f32_e32 v122, 0x3f5db3d7, v159
	v_mul_f32_e32 v125, 0xbf248dbb, v162
	v_fmac_f32_e32 v126, 0x3f7c1c5c, v111
	v_fmac_f32_e32 v121, 0x3f5db3d7, v160
	;; [unrolled: 1-line block ×5, first 2 shown]
	v_add_f32_e32 v127, v161, v111
	v_mul_f32_e32 v161, 0x3f7c1c5c, v161
	v_fmac_f32_e32 v82, -0.5, v129
	v_add_f32_e32 v95, v124, v128
	v_fmac_f32_e32 v121, 0x3eaf1d44, v162
	v_fmac_f32_e32 v125, 0xbf5db3d7, v160
	;; [unrolled: 1-line block ×3, first 2 shown]
	v_add_f32_e32 v128, v162, v138
	v_sub_f32_e32 v129, v127, v139
	v_mul_f32_e32 v162, 0x3f7c1c5c, v162
	v_fma_f32 v139, v139, s4, -v161
	v_fmac_f32_e32 v83, -0.5, v130
	v_add_f32_e32 v170, v163, v168
	v_fmac_f32_e32 v125, 0x3eaf1d44, v135
	v_sub_f32_e32 v130, v128, v135
	v_add_f32_e32 v168, v95, v87
	v_fma_f32 v135, v135, s4, -v162
	v_fmac_f32_e32 v139, 0x3f5db3d7, v159
	v_add_f32_e32 v171, v165, v169
	v_add_f32_e32 v169, v99, v91
	v_fmac_f32_e32 v135, 0x3f5db3d7, v160
	v_fmac_f32_e32 v139, 0x3eaf1d44, v111
	v_add_f32_e32 v111, v103, v168
	v_fmac_f32_e32 v135, 0x3eaf1d44, v138
	v_add_f32_e32 v138, v107, v169
	v_add_f32_e32 v111, v131, v111
	v_fmac_f32_e32 v82, 0xbf708fb2, v163
	v_add_f32_e32 v163, v131, v133
	v_add_f32_e32 v131, v132, v138
	;; [unrolled: 1-line block ×3, first 2 shown]
	v_fmac_f32_e32 v83, 0xbf708fb2, v165
	v_mov_b32_e32 v119, v115
	v_add_f32_e32 v165, v132, v134
	v_mov_b32_e32 v123, v115
	v_add_f32_e32 v127, v103, v115
	v_add_f32_e32 v132, v134, v131
	;; [unrolled: 1-line block ×3, first 2 shown]
	v_fmac_f32_e32 v115, 0x3f441b7d, v95
	v_fmac_f32_e32 v115, 0x3e31d0d4, v163
	v_fmac_f32_e32 v115, -0.5, v103
	v_mov_b32_e32 v120, v116
	v_mov_b32_e32 v124, v116
	v_add_f32_e32 v128, v107, v116
	v_add_f32_e32 v132, v132, v116
	v_fmac_f32_e32 v116, 0x3f441b7d, v99
	v_fmac_f32_e32 v115, 0xbf708fb2, v87
	v_mul_f32_e32 v155, v228, v73
	v_mul_f32_e32 v151, v232, v65
	v_fmac_f32_e32 v123, 0x3f441b7d, v163
	v_fmac_f32_e32 v116, 0x3e31d0d4, v165
	v_add_f32_e32 v115, v135, v115
	v_fmac_f32_e32 v155, v229, v72
	v_fmac_f32_e32 v151, v233, v64
	;; [unrolled: 1-line block ×5, first 2 shown]
	v_fmac_f32_e32 v116, -0.5, v107
	v_fma_f32 v133, -2.0, v135, v115
	v_sub_f32_e32 v111, v142, v157
	v_sub_f32_e32 v135, v143, v158
	v_fmac_f32_e32 v119, 0x3f441b7d, v87
	v_fmac_f32_e32 v120, 0x3e31d0d4, v99
	v_fmac_f32_e32 v124, 0x3e31d0d4, v91
	v_fmac_f32_e32 v123, -0.5, v103
	v_fmac_f32_e32 v116, 0xbf708fb2, v91
	v_add_f32_e32 v87, v142, v157
	v_add_f32_e32 v91, v143, v158
	v_sub_f32_e32 v157, v144, v147
	v_sub_f32_e32 v158, v145, v151
	v_mul_f32_e32 v143, 0x3f248dbb, v111
	v_mul_f32_e32 v142, 0x3f248dbb, v135
	v_sub_f32_e32 v161, v152, v154
	v_sub_f32_e32 v162, v153, v155
	v_fmac_f32_e32 v119, 0x3e31d0d4, v95
	v_fmac_f32_e32 v120, -0.5, v107
	v_fmac_f32_e32 v124, -0.5, v107
	v_fmac_f32_e32 v123, 0xbf708fb2, v95
	v_add_f32_e32 v95, v144, v147
	v_add_f32_e32 v107, v149, v146
	v_sub_f32_e32 v159, v148, v150
	v_sub_f32_e32 v160, v149, v146
	v_fmac_f32_e32 v143, 0x3f7c1c5c, v157
	v_fmac_f32_e32 v142, 0x3f7c1c5c, v158
	v_mul_f32_e32 v147, 0xbf248dbb, v161
	v_mul_f32_e32 v146, 0xbf248dbb, v162
	v_fmac_f32_e32 v143, 0x3f5db3d7, v159
	v_fmac_f32_e32 v142, 0x3f5db3d7, v160
	;; [unrolled: 1-line block ×4, first 2 shown]
	v_fmac_f32_e32 v119, -0.5, v103
	v_add_f32_e32 v103, v148, v150
	v_fmac_f32_e32 v143, 0x3eaf1d44, v161
	v_fmac_f32_e32 v142, 0x3eaf1d44, v162
	;; [unrolled: 1-line block ×4, first 2 shown]
	v_add_f32_e32 v148, v161, v111
	v_add_f32_e32 v149, v162, v135
	v_mul_f32_e32 v161, 0x3f7c1c5c, v161
	v_mul_f32_e32 v162, 0x3f7c1c5c, v162
	v_fmac_f32_e32 v124, 0xbf708fb2, v99
	v_add_f32_e32 v99, v145, v151
	v_fmac_f32_e32 v147, 0x3eaf1d44, v157
	v_fmac_f32_e32 v146, 0x3eaf1d44, v158
	v_sub_f32_e32 v150, v148, v157
	v_sub_f32_e32 v151, v149, v158
	v_fma_f32 v157, v157, s4, -v161
	v_fma_f32 v158, v158, s4, -v162
	v_fmac_f32_e32 v101, -0.5, v170
	v_fmac_f32_e32 v102, -0.5, v171
	v_add_f32_e32 v170, v163, v168
	v_add_f32_e32 v171, v165, v169
	;; [unrolled: 1-line block ×4, first 2 shown]
	v_fmac_f32_e32 v157, 0x3f5db3d7, v159
	v_fmac_f32_e32 v158, 0x3f5db3d7, v160
	v_sub_f32_e32 v116, v116, v139
	v_fmac_f32_e32 v157, 0x3eaf1d44, v111
	v_fmac_f32_e32 v158, 0x3eaf1d44, v135
	v_add_f32_e32 v111, v103, v168
	v_add_f32_e32 v135, v107, v169
	v_fma_f32 v134, 2.0, v139, v116
	v_mov_b32_e32 v138, v80
	v_mov_b32_e32 v139, v81
	v_add_f32_e32 v111, v152, v111
	v_add_f32_e32 v135, v153, v135
	v_fmac_f32_e32 v119, 0xbf708fb2, v163
	v_fmac_f32_e32 v120, 0xbf708fb2, v165
	;; [unrolled: 1-line block ×4, first 2 shown]
	v_add_f32_e32 v163, v152, v154
	v_add_f32_e32 v165, v153, v155
	v_mov_b32_e32 v144, v80
	v_mov_b32_e32 v145, v81
	v_add_f32_e32 v111, v154, v111
	v_add_f32_e32 v135, v155, v135
	v_fmac_f32_e32 v138, 0x3e31d0d4, v95
	v_fmac_f32_e32 v139, 0x3e31d0d4, v99
	v_fmac_f32_e32 v144, 0x3f441b7d, v163
	v_fmac_f32_e32 v145, 0x3f441b7d, v165
	v_add_f32_e32 v148, v103, v80
	v_add_f32_e32 v149, v107, v81
	;; [unrolled: 1-line block ×4, first 2 shown]
	v_fmac_f32_e32 v80, 0x3f441b7d, v95
	v_fmac_f32_e32 v81, 0x3f441b7d, v99
	v_mul_f32_e32 v166, 0x3f5db3d7, v105
	v_mul_f32_e32 v167, 0x3f5db3d7, v106
	v_fmac_f32_e32 v101, 0x3f5db3d7, v106
	v_fmac_f32_e32 v102, 0xbf5db3d7, v105
	v_fmac_f32_e32 v127, -0.5, v170
	v_fmac_f32_e32 v128, -0.5, v171
	;; [unrolled: 1-line block ×4, first 2 shown]
	v_fmac_f32_e32 v144, 0x3e31d0d4, v87
	v_fmac_f32_e32 v145, 0x3e31d0d4, v91
	;; [unrolled: 1-line block ×4, first 2 shown]
	v_add_f32_e32 v82, v89, v82
	v_sub_f32_e32 v83, v83, v90
	v_add_f32_e32 v93, v97, v93
	v_sub_f32_e32 v94, v94, v98
	v_fma_f32 v105, -2.0, v167, v101
	v_fma_f32 v106, 2.0, v166, v102
	v_add_f32_e32 v119, v121, v119
	v_sub_f32_e32 v120, v120, v122
	v_add_f32_e32 v123, v125, v123
	v_sub_f32_e32 v124, v124, v126
	v_mul_f32_e32 v166, 0x3f5db3d7, v129
	v_mul_f32_e32 v167, 0x3f5db3d7, v130
	v_fmac_f32_e32 v127, 0x3f5db3d7, v130
	v_fmac_f32_e32 v128, 0xbf5db3d7, v129
	;; [unrolled: 1-line block ×4, first 2 shown]
	v_fmac_f32_e32 v144, -0.5, v103
	v_fmac_f32_e32 v145, -0.5, v107
	v_add_f32_e32 v170, v163, v168
	v_add_f32_e32 v171, v165, v169
	v_fmac_f32_e32 v80, -0.5, v103
	v_fmac_f32_e32 v81, -0.5, v107
	v_fma_f32 v89, -2.0, v89, v82
	v_fma_f32 v90, 2.0, v90, v83
	v_fma_f32 v97, -2.0, v97, v93
	v_fma_f32 v98, 2.0, v98, v94
	;; [unrolled: 2-line block ×5, first 2 shown]
	v_add_f32_e32 v138, v142, v138
	v_sub_f32_e32 v139, v139, v143
	v_fmac_f32_e32 v144, 0xbf708fb2, v95
	v_fmac_f32_e32 v145, 0xbf708fb2, v99
	v_fmac_f32_e32 v148, -0.5, v170
	v_fmac_f32_e32 v149, -0.5, v171
	v_fmac_f32_e32 v80, 0xbf708fb2, v87
	v_fmac_f32_e32 v81, 0xbf708fb2, v91
	ds_write2_b64 v213, v[109:110], v[82:83] offset1:51
	ds_write2_b64 v213, v[93:94], v[101:102] offset0:102 offset1:153
	ds_write2_b64 v213, v[113:114], v[117:118] offset0:204 offset1:255
	;; [unrolled: 1-line block ×8, first 2 shown]
	v_add_u32_e32 v82, 0x1800, v225
	v_add_f32_e32 v144, v146, v144
	v_sub_f32_e32 v145, v145, v147
	v_fmac_f32_e32 v148, 0x3f5db3d7, v151
	v_fmac_f32_e32 v149, 0xbf5db3d7, v150
	v_add_f32_e32 v80, v158, v80
	v_sub_f32_e32 v81, v81, v157
	ds_write2_b64 v82, v[152:153], v[138:139] offset0:150 offset1:201
	v_add_u32_e32 v82, 0x1c00, v225
	v_mul_f32_e32 v166, 0x3f5db3d7, v150
	v_mul_f32_e32 v167, 0x3f5db3d7, v151
	v_fma_f32 v154, -2.0, v158, v80
	v_fma_f32 v155, 2.0, v157, v81
	ds_write2_b64 v82, v[144:145], v[148:149] offset0:124 offset1:175
	v_add_u32_e32 v82, 0x2000, v225
	v_fma_f32 v142, -2.0, v142, v138
	v_fma_f32 v143, 2.0, v143, v139
	v_fma_f32 v146, -2.0, v146, v144
	v_fma_f32 v147, 2.0, v147, v145
	;; [unrolled: 2-line block ×3, first 2 shown]
	ds_write2_b64 v82, v[80:81], v[154:155] offset0:98 offset1:149
	ds_write2_b64 v82, v[150:151], v[146:147] offset0:200 offset1:251
	ds_write_b64 v225, v[142:143] offset:10608
	v_lshlrev_b32_e32 v80, 4, v207
	s_waitcnt lgkmcnt(0)
	; wave barrier
	s_waitcnt lgkmcnt(0)
	global_load_dwordx4 v[80:83], v80, s[2:3] offset:3536
	v_lshlrev_b32_e32 v113, 3, v207
	global_load_dwordx4 v[84:87], v84, s[2:3] offset:3536
	v_mov_b32_e32 v114, s17
	global_load_dwordx4 v[88:91], v88, s[2:3] offset:3536
	v_add_co_u32_e32 v142, vcc, s16, v113
	global_load_dwordx4 v[92:95], v92, s[2:3] offset:3536
	v_addc_co_u32_e32 v143, vcc, 0, v114, vcc
	global_load_dwordx4 v[96:99], v96, s[2:3] offset:3536
	s_movk_i32 s4, 0x2000
	global_load_dwordx4 v[100:103], v100, s[2:3] offset:3536
	s_nop 0
	global_load_dwordx4 v[104:107], v104, s[2:3] offset:3536
	s_nop 0
	;; [unrolled: 2-line block ×3, first 2 shown]
	global_load_dwordx4 v[112:115], v112, s[2:3] offset:3536
	ds_read2_b64 v[144:147], v213 offset1:51
	ds_read2_b64 v[120:123], v137 offset0:152 offset1:203
	ds_read2_b64 v[128:131], v136 offset0:150 offset1:201
	;; [unrolled: 1-line block ×12, first 2 shown]
	ds_read_b64 v[138:139], v213 offset:10608
	s_movk_i32 s2, 0x2b08
	s_waitcnt vmcnt(8) lgkmcnt(12)
	v_mul_f32_e32 v161, v123, v81
	v_fma_f32 v161, v122, v80, -v161
	v_mul_f32_e32 v122, v122, v81
	v_fmac_f32_e32 v122, v123, v80
	s_waitcnt lgkmcnt(11)
	v_mul_f32_e32 v123, v129, v83
	v_fma_f32 v123, v128, v82, -v123
	v_mul_f32_e32 v162, v128, v83
	s_waitcnt vmcnt(7) lgkmcnt(10)
	v_mul_f32_e32 v128, v133, v85
	v_fma_f32 v163, v132, v84, -v128
	v_mul_f32_e32 v132, v132, v85
	v_mul_f32_e32 v128, v131, v87
	v_fmac_f32_e32 v132, v133, v84
	v_fma_f32 v133, v130, v86, -v128
	v_mul_f32_e32 v130, v130, v87
	s_waitcnt vmcnt(6)
	v_mul_f32_e32 v128, v135, v89
	v_fmac_f32_e32 v130, v131, v86
	v_fma_f32 v131, v134, v88, -v128
	v_mul_f32_e32 v134, v134, v89
	s_waitcnt lgkmcnt(8)
	v_mul_f32_e32 v128, v153, v91
	v_fmac_f32_e32 v134, v135, v88
	v_fma_f32 v135, v152, v90, -v128
	s_waitcnt vmcnt(5) lgkmcnt(7)
	v_mul_f32_e32 v128, v158, v93
	v_fma_f32 v170, v157, v92, -v128
	v_mul_f32_e32 v128, v155, v95
	v_fma_f32 v174, v154, v94, -v128
	s_waitcnt vmcnt(4)
	v_mul_f32_e32 v128, v160, v97
	v_fma_f32 v176, v159, v96, -v128
	s_waitcnt lgkmcnt(5)
	v_mul_f32_e32 v128, v166, v99
	v_fma_f32 v178, v165, v98, -v128
	s_waitcnt vmcnt(3) lgkmcnt(4)
	v_mul_f32_e32 v128, v228, v101
	v_fma_f32 v180, v227, v100, -v128
	v_mul_f32_e32 v128, v168, v103
	v_fma_f32 v182, v167, v102, -v128
	s_waitcnt vmcnt(2)
	v_mul_f32_e32 v128, v230, v105
	v_fma_f32 v184, v229, v104, -v128
	s_waitcnt lgkmcnt(2)
	v_mul_f32_e32 v128, v232, v107
	v_fma_f32 v186, v231, v106, -v128
	s_waitcnt vmcnt(1) lgkmcnt(1)
	v_mul_f32_e32 v128, v236, v109
	v_fma_f32 v188, v235, v108, -v128
	v_mul_f32_e32 v128, v234, v111
	v_fma_f32 v190, v233, v110, -v128
	s_waitcnt vmcnt(0)
	v_mul_f32_e32 v128, v238, v113
	v_fmac_f32_e32 v162, v129, v82
	v_fma_f32 v192, v237, v112, -v128
	s_waitcnt lgkmcnt(0)
	v_mul_f32_e32 v128, v139, v115
	v_add_f32_e32 v129, v161, v123
	v_fma_f32 v194, v138, v114, -v128
	v_add_f32_e32 v128, v144, v161
	v_fma_f32 v144, -0.5, v129, v144
	v_mul_f32_e32 v169, v152, v91
	v_sub_f32_e32 v129, v122, v162
	v_mov_b32_e32 v152, v144
	v_fmac_f32_e32 v152, 0x3f5db3d7, v129
	v_fmac_f32_e32 v144, 0xbf5db3d7, v129
	v_add_f32_e32 v129, v145, v122
	v_add_f32_e32 v122, v122, v162
	v_fma_f32 v145, -0.5, v122, v145
	v_fmac_f32_e32 v169, v153, v90
	v_sub_f32_e32 v122, v161, v123
	v_mov_b32_e32 v153, v145
	v_fmac_f32_e32 v153, 0xbf5db3d7, v122
	v_fmac_f32_e32 v145, 0x3f5db3d7, v122
	v_add_f32_e32 v122, v146, v163
	v_mul_f32_e32 v175, v154, v95
	v_add_f32_e32 v154, v122, v133
	v_add_f32_e32 v122, v163, v133
	v_fma_f32 v146, -0.5, v122, v146
	v_mul_f32_e32 v171, v157, v93
	v_sub_f32_e32 v122, v132, v130
	v_mov_b32_e32 v157, v146
	v_fmac_f32_e32 v157, 0x3f5db3d7, v122
	v_fmac_f32_e32 v146, 0xbf5db3d7, v122
	v_add_f32_e32 v122, v147, v132
	v_fmac_f32_e32 v175, v155, v94
	v_add_f32_e32 v155, v122, v130
	v_add_f32_e32 v122, v132, v130
	v_fmac_f32_e32 v147, -0.5, v122
	v_fmac_f32_e32 v171, v158, v92
	v_sub_f32_e32 v122, v163, v133
	v_mov_b32_e32 v158, v147
	v_fmac_f32_e32 v158, 0xbf5db3d7, v122
	v_fmac_f32_e32 v147, 0x3f5db3d7, v122
	v_add_f32_e32 v122, v148, v131
	v_mul_f32_e32 v177, v159, v97
	v_add_f32_e32 v159, v122, v135
	v_add_f32_e32 v122, v131, v135
	v_fma_f32 v148, -0.5, v122, v148
	v_sub_f32_e32 v122, v134, v169
	v_mov_b32_e32 v161, v148
	v_fmac_f32_e32 v161, 0x3f5db3d7, v122
	v_fmac_f32_e32 v148, 0xbf5db3d7, v122
	v_add_f32_e32 v122, v149, v134
	v_fmac_f32_e32 v177, v160, v96
	v_add_f32_e32 v160, v122, v169
	v_add_f32_e32 v122, v134, v169
	v_fma_f32 v149, -0.5, v122, v149
	v_add_f32_e32 v129, v129, v162
	v_sub_f32_e32 v122, v131, v135
	v_mov_b32_e32 v162, v149
	v_fmac_f32_e32 v162, 0xbf5db3d7, v122
	v_fmac_f32_e32 v149, 0x3f5db3d7, v122
	v_add_f32_e32 v122, v150, v170
	v_mul_f32_e32 v179, v165, v99
	v_add_f32_e32 v165, v122, v174
	v_add_f32_e32 v122, v170, v174
	v_fma_f32 v150, -0.5, v122, v150
	v_mul_f32_e32 v183, v167, v103
	v_sub_f32_e32 v122, v171, v175
	v_mov_b32_e32 v167, v150
	v_fmac_f32_e32 v167, 0x3f5db3d7, v122
	v_fmac_f32_e32 v150, 0xbf5db3d7, v122
	v_add_f32_e32 v122, v151, v171
	v_fmac_f32_e32 v179, v166, v98
	v_add_f32_e32 v166, v122, v175
	v_add_f32_e32 v122, v171, v175
	v_fmac_f32_e32 v151, -0.5, v122
	v_fmac_f32_e32 v183, v168, v102
	v_sub_f32_e32 v122, v170, v174
	v_mov_b32_e32 v168, v151
	v_fmac_f32_e32 v168, 0xbf5db3d7, v122
	v_fmac_f32_e32 v151, 0x3f5db3d7, v122
	v_add_f32_e32 v122, v116, v176
	v_add_f32_e32 v169, v122, v178
	;; [unrolled: 1-line block ×3, first 2 shown]
	v_fma_f32 v211, -0.5, v122, v116
	v_mul_f32_e32 v181, v227, v101
	v_sub_f32_e32 v116, v177, v179
	v_mov_b32_e32 v227, v211
	v_fmac_f32_e32 v227, 0x3f5db3d7, v116
	v_fmac_f32_e32 v211, 0xbf5db3d7, v116
	v_add_f32_e32 v116, v117, v177
	v_add_f32_e32 v170, v116, v179
	;; [unrolled: 1-line block ×3, first 2 shown]
	v_fma_f32 v212, -0.5, v116, v117
	v_fmac_f32_e32 v181, v228, v100
	v_sub_f32_e32 v116, v176, v178
	v_mov_b32_e32 v228, v212
	v_fmac_f32_e32 v228, 0xbf5db3d7, v116
	v_fmac_f32_e32 v212, 0x3f5db3d7, v116
	v_add_f32_e32 v116, v118, v180
	v_mul_f32_e32 v185, v229, v105
	v_add_f32_e32 v229, v116, v182
	v_add_f32_e32 v116, v180, v182
	v_fma_f32 v118, -0.5, v116, v118
	v_mul_f32_e32 v187, v231, v107
	v_sub_f32_e32 v116, v181, v183
	v_mov_b32_e32 v231, v118
	v_fmac_f32_e32 v231, 0x3f5db3d7, v116
	v_fmac_f32_e32 v118, 0xbf5db3d7, v116
	v_add_f32_e32 v116, v119, v181
	v_fmac_f32_e32 v185, v230, v104
	v_add_f32_e32 v230, v116, v183
	v_add_f32_e32 v116, v181, v183
	v_fmac_f32_e32 v119, -0.5, v116
	v_fmac_f32_e32 v187, v232, v106
	v_sub_f32_e32 v116, v180, v182
	v_mov_b32_e32 v232, v119
	v_fmac_f32_e32 v232, 0xbf5db3d7, v116
	v_fmac_f32_e32 v119, 0x3f5db3d7, v116
	v_add_f32_e32 v116, v124, v184
	v_add_f32_e32 v6, v116, v186
	;; [unrolled: 1-line block ×3, first 2 shown]
	v_fma_f32 v124, -0.5, v116, v124
	v_sub_f32_e32 v116, v185, v187
	v_mov_b32_e32 v122, v124
	v_fmac_f32_e32 v122, 0x3f5db3d7, v116
	v_fmac_f32_e32 v124, 0xbf5db3d7, v116
	v_add_f32_e32 v116, v125, v185
	v_add_f32_e32 v7, v116, v187
	;; [unrolled: 1-line block ×3, first 2 shown]
	v_fma_f32 v125, -0.5, v116, v125
	v_add_f32_e32 v128, v128, v123
	v_sub_f32_e32 v116, v184, v186
	v_mov_b32_e32 v123, v125
	v_fmac_f32_e32 v123, 0xbf5db3d7, v116
	v_fmac_f32_e32 v125, 0x3f5db3d7, v116
	v_add_f32_e32 v116, v126, v188
	v_mul_f32_e32 v189, v235, v109
	v_mul_f32_e32 v191, v233, v111
	v_add_f32_e32 v132, v116, v190
	v_add_f32_e32 v116, v188, v190
	v_fmac_f32_e32 v189, v236, v108
	v_fmac_f32_e32 v191, v234, v110
	v_fma_f32 v126, -0.5, v116, v126
	v_sub_f32_e32 v116, v189, v191
	v_mov_b32_e32 v134, v126
	v_fmac_f32_e32 v134, 0x3f5db3d7, v116
	v_fmac_f32_e32 v126, 0xbf5db3d7, v116
	v_add_f32_e32 v116, v127, v189
	v_add_f32_e32 v133, v116, v191
	;; [unrolled: 1-line block ×3, first 2 shown]
	v_fmac_f32_e32 v127, -0.5, v116
	v_sub_f32_e32 v116, v188, v190
	v_mov_b32_e32 v135, v127
	v_fmac_f32_e32 v135, 0xbf5db3d7, v116
	v_fmac_f32_e32 v127, 0x3f5db3d7, v116
	v_add_f32_e32 v116, v120, v192
	v_mul_f32_e32 v193, v237, v113
	v_mul_f32_e32 v195, v138, v115
	v_add_f32_e32 v10, v116, v194
	v_add_f32_e32 v116, v192, v194
	v_fmac_f32_e32 v193, v238, v112
	v_fmac_f32_e32 v195, v139, v114
	v_fma_f32 v120, -0.5, v116, v120
	v_sub_f32_e32 v117, v193, v195
	v_mov_b32_e32 v116, v120
	v_fmac_f32_e32 v116, 0x3f5db3d7, v117
	v_fmac_f32_e32 v120, 0xbf5db3d7, v117
	v_add_f32_e32 v117, v121, v193
	v_add_f32_e32 v11, v117, v195
	;; [unrolled: 1-line block ×3, first 2 shown]
	v_fmac_f32_e32 v121, -0.5, v117
	v_sub_f32_e32 v163, v192, v194
	v_mov_b32_e32 v117, v121
	v_fmac_f32_e32 v117, 0xbf5db3d7, v163
	v_fmac_f32_e32 v121, 0x3f5db3d7, v163
	ds_write2_b64 v213, v[128:129], v[154:155] offset1:51
	ds_write2_b64 v136, v[144:145], v[146:147] offset0:150 offset1:201
	ds_write2_b64 v140, v[157:158], v[161:162] offset0:126 offset1:177
	;; [unrolled: 1-line block ×12, first 2 shown]
	ds_write_b64 v213, v[120:121] offset:10608
	v_add_co_u32_e32 v128, vcc, s4, v142
	v_addc_co_u32_e32 v129, vcc, 0, v143, vcc
	s_waitcnt lgkmcnt(0)
	; wave barrier
	s_waitcnt lgkmcnt(0)
	global_load_dwordx2 v[148:149], v[128:129], off offset:2824
	v_add_co_u32_e32 v128, vcc, s2, v142
	v_addc_co_u32_e32 v129, vcc, 0, v143, vcc
	global_load_dwordx2 v[150:151], v[128:129], off offset:648
	global_load_dwordx2 v[152:153], v[128:129], off offset:1296
	;; [unrolled: 1-line block ×5, first 2 shown]
	s_movk_i32 s2, 0x3000
	v_add_co_u32_e32 v144, vcc, s2, v142
	v_addc_co_u32_e32 v145, vcc, 0, v143, vcc
	global_load_dwordx2 v[161:162], v[144:145], off offset:3264
	global_load_dwordx2 v[165:166], v[128:129], off offset:3888
	;; [unrolled: 1-line block ×3, first 2 shown]
	s_movk_i32 s2, 0x4000
	v_add_co_u32_e32 v169, vcc, s2, v142
	v_addc_co_u32_e32 v170, vcc, 0, v143, vcc
	global_load_dwordx2 v[211:212], v[169:170], off offset:464
	global_load_dwordx2 v[227:228], v[169:170], off offset:1112
	global_load_dwordx2 v[229:230], v[169:170], off offset:1760
	global_load_dwordx2 v[231:232], v[169:170], off offset:2408
	global_load_dwordx2 v[233:234], v[169:170], off offset:3056
	s_movk_i32 s2, 0x5000
	global_load_dwordx2 v[169:170], v[169:170], off offset:3704
	v_add_co_u32_e32 v142, vcc, s2, v142
	v_addc_co_u32_e32 v143, vcc, 0, v143, vcc
	global_load_dwordx2 v[239:240], v[142:143], off offset:904
	global_load_dwordx2 v[235:236], v[142:143], off offset:256
	ds_read2_b64 v[144:147], v213 offset1:81
	s_waitcnt vmcnt(16) lgkmcnt(0)
	v_mul_f32_e32 v163, v145, v149
	v_fma_f32 v237, v144, v148, -v163
	v_mul_f32_e32 v238, v144, v149
	s_waitcnt vmcnt(15)
	v_mul_f32_e32 v144, v147, v151
	v_mul_f32_e32 v143, v146, v151
	v_fmac_f32_e32 v238, v145, v148
	v_fma_f32 v142, v146, v150, -v144
	v_fmac_f32_e32 v143, v147, v150
	ds_write2_b64 v213, v[237:238], v[142:143] offset1:81
	ds_read2_b64 v[142:145], v213 offset0:162 offset1:243
	s_waitcnt vmcnt(14) lgkmcnt(0)
	v_mul_f32_e32 v146, v143, v153
	v_fma_f32 v150, v142, v152, -v146
	ds_read2_b64 v[146:149], v137 offset0:68 offset1:149
	v_mul_f32_e32 v151, v142, v153
	v_fmac_f32_e32 v151, v143, v152
	s_waitcnt vmcnt(13)
	v_mul_f32_e32 v142, v145, v155
	v_mul_f32_e32 v143, v144, v155
	v_fma_f32 v142, v144, v154, -v142
	v_fmac_f32_e32 v143, v145, v154
	ds_write2_b64 v213, v[150:151], v[142:143] offset0:162 offset1:243
	s_waitcnt vmcnt(12) lgkmcnt(1)
	v_mul_f32_e32 v142, v147, v158
	v_fma_f32 v150, v146, v157, -v142
	ds_read2_b64 v[142:145], v140 offset0:102 offset1:183
	v_mul_f32_e32 v151, v146, v158
	v_fmac_f32_e32 v151, v147, v157
	s_waitcnt vmcnt(11)
	v_mul_f32_e32 v146, v149, v160
	v_mul_f32_e32 v147, v148, v160
	v_fma_f32 v146, v148, v159, -v146
	v_fmac_f32_e32 v147, v149, v159
	ds_write2_b64 v137, v[150:151], v[146:147] offset0:68 offset1:149
	s_waitcnt vmcnt(9) lgkmcnt(1)
	v_mul_f32_e32 v146, v143, v166
	v_fma_f32 v150, v142, v165, -v146
	ds_read2_b64 v[146:149], v141 offset0:136 offset1:217
	v_mul_f32_e32 v151, v142, v166
	v_fmac_f32_e32 v151, v143, v165
	v_mul_f32_e32 v142, v145, v162
	v_mul_f32_e32 v143, v144, v162
	v_fma_f32 v142, v144, v161, -v142
	v_fmac_f32_e32 v143, v145, v161
	ds_write2_b64 v140, v[150:151], v[142:143] offset0:102 offset1:183
	s_waitcnt vmcnt(8) lgkmcnt(1)
	v_mul_f32_e32 v142, v147, v168
	v_fma_f32 v150, v146, v167, -v142
	ds_read2_b64 v[142:145], v136 offset0:42 offset1:123
	v_mul_f32_e32 v151, v146, v168
	v_fmac_f32_e32 v151, v147, v167
	s_waitcnt vmcnt(7)
	v_mul_f32_e32 v146, v149, v212
	v_mul_f32_e32 v147, v148, v212
	v_fma_f32 v146, v148, v211, -v146
	v_fmac_f32_e32 v147, v149, v211
	ds_write2_b64 v141, v[150:151], v[146:147] offset0:136 offset1:217
	s_waitcnt vmcnt(6) lgkmcnt(1)
	v_mul_f32_e32 v146, v143, v228
	v_fma_f32 v150, v142, v227, -v146
	ds_read2_b64 v[146:149], v156 offset0:76 offset1:157
	v_mul_f32_e32 v151, v142, v228
	v_fmac_f32_e32 v151, v143, v227
	s_waitcnt vmcnt(5)
	;; [unrolled: 12-line block ×3, first 2 shown]
	v_mul_f32_e32 v146, v149, v234
	v_mul_f32_e32 v147, v148, v234
	v_fma_f32 v146, v148, v233, -v146
	v_fmac_f32_e32 v147, v149, v233
	ds_write2_b64 v156, v[150:151], v[146:147] offset0:76 offset1:157
	s_waitcnt vmcnt(2) lgkmcnt(1)
	v_mul_f32_e32 v146, v143, v170
	v_mul_f32_e32 v147, v142, v170
	v_fma_f32 v146, v142, v169, -v146
	v_fmac_f32_e32 v147, v143, v169
	ds_read_b64 v[142:143], v213 offset:10368
	s_waitcnt vmcnt(0)
	v_mul_f32_e32 v148, v145, v236
	v_mul_f32_e32 v149, v144, v236
	v_fma_f32 v148, v144, v235, -v148
	v_fmac_f32_e32 v149, v145, v235
	s_waitcnt lgkmcnt(0)
	v_mul_f32_e32 v144, v143, v240
	v_mul_f32_e32 v145, v142, v240
	v_fma_f32 v144, v142, v239, -v144
	v_fmac_f32_e32 v145, v143, v239
	ds_write2_b64 v164, v[146:147], v[148:149] offset0:110 offset1:191
	ds_write_b64 v213, v[144:145] offset:10368
	s_and_saveexec_b64 s[2:3], s[0:1]
	s_cbranch_execz .LBB0_9
; %bb.8:
	global_load_dwordx2 v[146:147], v[128:129], off offset:408
	ds_read2_b64 v[142:145], v213 offset0:51 offset1:132
	v_add_u32_e32 v150, 0x400, v213
	v_add_u32_e32 v152, 0x1400, v213
	s_waitcnt vmcnt(0) lgkmcnt(0)
	v_mul_f32_e32 v148, v143, v147
	v_mul_f32_e32 v149, v142, v147
	v_fma_f32 v148, v142, v146, -v148
	v_fmac_f32_e32 v149, v143, v146
	global_load_dwordx2 v[142:143], v[128:129], off offset:1056
	s_waitcnt vmcnt(0)
	v_mul_f32_e32 v146, v145, v143
	v_mul_f32_e32 v147, v144, v143
	v_fma_f32 v146, v144, v142, -v146
	v_fmac_f32_e32 v147, v145, v142
	ds_write2_b64 v213, v[148:149], v[146:147] offset0:51 offset1:132
	global_load_dwordx2 v[146:147], v[128:129], off offset:1704
	ds_read2_b64 v[142:145], v150 offset0:85 offset1:166
	s_waitcnt vmcnt(0) lgkmcnt(0)
	v_mul_f32_e32 v148, v143, v147
	v_mul_f32_e32 v149, v142, v147
	v_fma_f32 v148, v142, v146, -v148
	v_fmac_f32_e32 v149, v143, v146
	global_load_dwordx2 v[142:143], v[128:129], off offset:2352
	s_waitcnt vmcnt(0)
	v_mul_f32_e32 v146, v145, v143
	v_mul_f32_e32 v147, v144, v143
	v_fma_f32 v146, v144, v142, -v146
	v_fmac_f32_e32 v147, v145, v142
	ds_write2_b64 v150, v[148:149], v[146:147] offset0:85 offset1:166
	global_load_dwordx2 v[146:147], v[128:129], off offset:3000
	ds_read2_b64 v[142:145], v137 offset0:119 offset1:200
	s_waitcnt vmcnt(0) lgkmcnt(0)
	v_mul_f32_e32 v148, v143, v147
	v_mul_f32_e32 v149, v142, v147
	v_fma_f32 v148, v142, v146, -v148
	v_fmac_f32_e32 v149, v143, v146
	global_load_dwordx2 v[142:143], v[128:129], off offset:3648
	s_waitcnt vmcnt(0)
	v_mul_f32_e32 v146, v145, v143
	v_mul_f32_e32 v147, v144, v143
	v_fma_f32 v146, v144, v142, -v146
	v_fmac_f32_e32 v147, v145, v142
	ds_write2_b64 v137, v[148:149], v[146:147] offset0:119 offset1:200
	v_add_co_u32_e32 v146, vcc, s5, v128
	v_addc_co_u32_e32 v147, vcc, 0, v129, vcc
	global_load_dwordx2 v[148:149], v[146:147], off offset:200
	ds_read2_b64 v[142:145], v141 offset0:25 offset1:106
	v_add_co_u32_e32 v128, vcc, s4, v128
	v_addc_co_u32_e32 v129, vcc, 0, v129, vcc
	s_waitcnt vmcnt(0) lgkmcnt(0)
	v_mul_f32_e32 v150, v143, v149
	v_mul_f32_e32 v151, v142, v149
	v_fma_f32 v150, v142, v148, -v150
	v_fmac_f32_e32 v151, v143, v148
	global_load_dwordx2 v[142:143], v[146:147], off offset:848
	s_waitcnt vmcnt(0)
	v_mul_f32_e32 v148, v145, v143
	v_mul_f32_e32 v149, v144, v143
	v_fma_f32 v148, v144, v142, -v148
	v_fmac_f32_e32 v149, v145, v142
	ds_write2_b64 v141, v[150:151], v[148:149] offset0:25 offset1:106
	global_load_dwordx2 v[148:149], v[146:147], off offset:1496
	ds_read2_b64 v[142:145], v152 offset0:59 offset1:140
	s_waitcnt vmcnt(0) lgkmcnt(0)
	v_mul_f32_e32 v150, v143, v149
	v_mul_f32_e32 v151, v142, v149
	v_fma_f32 v150, v142, v148, -v150
	v_fmac_f32_e32 v151, v143, v148
	global_load_dwordx2 v[142:143], v[146:147], off offset:2144
	s_waitcnt vmcnt(0)
	v_mul_f32_e32 v148, v145, v143
	v_mul_f32_e32 v149, v144, v143
	v_fma_f32 v148, v144, v142, -v148
	v_fmac_f32_e32 v149, v145, v142
	ds_write2_b64 v152, v[150:151], v[148:149] offset0:59 offset1:140
	global_load_dwordx2 v[148:149], v[146:147], off offset:2792
	ds_read2_b64 v[142:145], v136 offset0:93 offset1:174
	s_waitcnt vmcnt(0) lgkmcnt(0)
	v_mul_f32_e32 v150, v143, v149
	v_mul_f32_e32 v151, v142, v149
	v_fma_f32 v150, v142, v148, -v150
	v_fmac_f32_e32 v151, v143, v148
	global_load_dwordx2 v[142:143], v[146:147], off offset:3440
	s_waitcnt vmcnt(0)
	v_mul_f32_e32 v148, v145, v143
	global_load_dwordx2 v[146:147], v[146:147], off offset:4088
	v_mul_f32_e32 v149, v144, v143
	v_fma_f32 v148, v144, v142, -v148
	v_fmac_f32_e32 v149, v145, v142
	ds_read2_b64 v[142:145], v156 offset0:127 offset1:208
	ds_write2_b64 v136, v[150:151], v[148:149] offset0:93 offset1:174
	s_waitcnt vmcnt(0) lgkmcnt(1)
	v_mul_f32_e32 v148, v143, v147
	v_mul_f32_e32 v149, v142, v147
	v_fma_f32 v148, v142, v146, -v148
	v_fmac_f32_e32 v149, v143, v146
	global_load_dwordx2 v[142:143], v[128:129], off offset:640
	s_waitcnt vmcnt(0)
	v_mul_f32_e32 v146, v145, v143
	v_mul_f32_e32 v147, v144, v143
	v_fma_f32 v146, v144, v142, -v146
	v_fmac_f32_e32 v147, v145, v142
	ds_write2_b64 v156, v[148:149], v[146:147] offset0:127 offset1:208
	global_load_dwordx2 v[146:147], v[128:129], off offset:1288
	ds_read2_b64 v[142:145], v164 offset0:161 offset1:242
	s_waitcnt vmcnt(0) lgkmcnt(0)
	v_mul_f32_e32 v148, v143, v147
	v_mul_f32_e32 v149, v142, v147
	v_fma_f32 v148, v142, v146, -v148
	v_fmac_f32_e32 v149, v143, v146
	global_load_dwordx2 v[142:143], v[128:129], off offset:1936
	s_waitcnt vmcnt(0)
	v_mul_f32_e32 v146, v145, v143
	global_load_dwordx2 v[128:129], v[128:129], off offset:2584
	v_mul_f32_e32 v147, v144, v143
	v_fma_f32 v146, v144, v142, -v146
	v_fmac_f32_e32 v147, v145, v142
	ds_read_b64 v[142:143], v213 offset:10776
	ds_write2_b64 v164, v[148:149], v[146:147] offset0:161 offset1:242
	s_waitcnt vmcnt(0) lgkmcnt(1)
	v_mul_f32_e32 v144, v143, v129
	v_mul_f32_e32 v145, v142, v129
	v_fma_f32 v144, v142, v128, -v144
	v_fmac_f32_e32 v145, v143, v128
	ds_write_b64 v213, v[144:145] offset:10776
.LBB0_9:
	s_or_b64 exec, exec, s[2:3]
	s_waitcnt lgkmcnt(0)
	; wave barrier
	s_waitcnt lgkmcnt(0)
	ds_read2_b64 v[168:171], v213 offset1:81
	ds_read2_b64 v[160:163], v213 offset0:162 offset1:243
	ds_read2_b64 v[152:155], v137 offset0:68 offset1:149
	;; [unrolled: 1-line block ×7, first 2 shown]
	ds_read_b64 v[211:212], v213 offset:10368
	s_and_saveexec_b64 s[2:3], s[0:1]
	s_cbranch_execz .LBB0_11
; %bb.10:
	v_add_u32_e32 v0, 0x400, v213
	ds_read2_b64 v[122:125], v0 offset0:85 offset1:166
	v_add_u32_e32 v0, 0x800, v213
	ds_read2_b64 v[132:135], v0 offset0:119 offset1:200
	;; [unrolled: 2-line block ×5, first 2 shown]
	ds_read2_b64 v[4:7], v213 offset0:51 offset1:132
	s_waitcnt lgkmcnt(1)
	buffer_store_dword v0, off, s[24:27], 0 offset:16 ; 4-byte Folded Spill
	s_nop 0
	buffer_store_dword v1, off, s[24:27], 0 offset:20 ; 4-byte Folded Spill
	buffer_store_dword v2, off, s[24:27], 0 offset:24 ; 4-byte Folded Spill
	;; [unrolled: 1-line block ×3, first 2 shown]
	v_add_u32_e32 v0, 0x1c00, v213
	ds_read2_b64 v[0:3], v0 offset0:127 offset1:208
	s_waitcnt lgkmcnt(0)
	buffer_store_dword v0, off, s[24:27], 0 ; 4-byte Folded Spill
	s_nop 0
	buffer_store_dword v1, off, s[24:27], 0 offset:4 ; 4-byte Folded Spill
	buffer_store_dword v2, off, s[24:27], 0 offset:8 ; 4-byte Folded Spill
	;; [unrolled: 1-line block ×3, first 2 shown]
	v_add_u32_e32 v0, 0x2000, v213
	ds_read2_b64 v[249:252], v0 offset0:161 offset1:242
	ds_read_b64 v[172:173], v213 offset:10776
	v_mov_b32_e32 v120, v118
	v_mov_b32_e32 v121, v119
	v_mov_b32_e32 v126, v8
	v_mov_b32_e32 v127, v9
	v_mov_b32_e32 v118, v4
	v_mov_b32_e32 v119, v5
.LBB0_11:
	s_or_b64 exec, exec, s[2:3]
	s_waitcnt lgkmcnt(8)
	v_add_f32_e32 v128, v168, v170
	v_add_f32_e32 v129, v169, v171
	s_waitcnt lgkmcnt(7)
	v_add_f32_e32 v128, v128, v160
	v_add_f32_e32 v129, v129, v161
	v_add_f32_e32 v128, v128, v162
	v_add_f32_e32 v129, v129, v163
	s_waitcnt lgkmcnt(6)
	v_add_f32_e32 v128, v128, v152
	v_add_f32_e32 v129, v129, v153
	;; [unrolled: 5-line block ×4, first 2 shown]
	v_add_f32_e32 v128, v128, v142
	v_add_f32_e32 v129, v129, v143
	s_waitcnt lgkmcnt(3)
	v_add_f32_e32 v128, v128, v148
	s_waitcnt lgkmcnt(0)
	v_add_f32_e32 v137, v212, v171
	v_add_f32_e32 v129, v129, v149
	;; [unrolled: 1-line block ×3, first 2 shown]
	v_sub_f32_e32 v171, v171, v212
	v_mul_f32_e32 v176, 0x3f6eb680, v137
	v_mul_f32_e32 v180, 0x3f3d2fb0, v137
	;; [unrolled: 1-line block ×8, first 2 shown]
	v_add_f32_e32 v129, v129, v151
	v_add_f32_e32 v128, v128, v156
	v_add_f32_e32 v136, v211, v170
	v_sub_f32_e32 v170, v170, v211
	v_mul_f32_e32 v174, 0xbeb8f4ab, v171
	v_mov_b32_e32 v177, v176
	v_mul_f32_e32 v178, 0xbf2c7751, v171
	v_mov_b32_e32 v181, v180
	v_mul_f32_e32 v182, 0xbf65296c, v171
	v_mov_b32_e32 v185, v184
	v_mul_f32_e32 v186, 0xbf7ee86f, v171
	v_mov_b32_e32 v189, v188
	v_mul_f32_e32 v190, 0xbf763a35, v171
	v_mov_b32_e32 v193, v192
	v_mul_f32_e32 v194, 0xbf4c4adb, v171
	v_mov_b32_e32 v197, v196
	v_mul_f32_e32 v198, 0xbf06c442, v171
	v_mov_b32_e32 v201, v200
	v_mul_f32_e32 v171, 0xbe3c28d5, v171
	v_mov_b32_e32 v203, v137
	v_add_f32_e32 v129, v129, v157
	v_add_f32_e32 v128, v128, v158
	s_mov_b32 s4, 0x3f6eb680
	v_mov_b32_e32 v175, v174
	v_fmac_f32_e32 v177, 0x3eb8f4ab, v170
	v_fmac_f32_e32 v176, 0xbeb8f4ab, v170
	s_mov_b32 s5, 0x3f3d2fb0
	v_mov_b32_e32 v179, v178
	v_fmac_f32_e32 v181, 0x3f2c7751, v170
	v_fmac_f32_e32 v180, 0xbf2c7751, v170
	;; [unrolled: 4-line block ×8, first 2 shown]
	v_add_f32_e32 v129, v129, v159
	v_add_f32_e32 v128, v128, v164
	v_fmac_f32_e32 v175, 0x3f6eb680, v136
	v_add_f32_e32 v177, v169, v177
	v_fma_f32 v174, v136, s4, -v174
	v_add_f32_e32 v176, v169, v176
	v_fmac_f32_e32 v179, 0x3f3d2fb0, v136
	v_add_f32_e32 v181, v169, v181
	v_fma_f32 v178, v136, s5, -v178
	;; [unrolled: 4-line block ×8, first 2 shown]
	v_add_f32_e32 v137, v169, v137
	v_add_f32_e32 v169, v167, v161
	v_sub_f32_e32 v161, v161, v167
	v_add_f32_e32 v129, v129, v165
	v_add_f32_e32 v128, v128, v166
	;; [unrolled: 1-line block ×19, first 2 shown]
	v_sub_f32_e32 v160, v160, v166
	v_mul_f32_e32 v166, 0xbf2c7751, v161
	v_add_f32_e32 v129, v129, v167
	v_mov_b32_e32 v167, v166
	v_fma_f32 v166, v168, s5, -v166
	v_fmac_f32_e32 v167, 0x3f3d2fb0, v168
	v_mul_f32_e32 v170, 0x3f3d2fb0, v169
	v_add_f32_e32 v166, v166, v174
	v_mul_f32_e32 v174, 0xbf7ee86f, v161
	v_add_f32_e32 v167, v167, v175
	v_mov_b32_e32 v171, v170
	v_fmac_f32_e32 v170, 0xbf2c7751, v160
	v_mov_b32_e32 v175, v174
	v_fma_f32 v174, v168, s13, -v174
	v_fmac_f32_e32 v171, 0x3f2c7751, v160
	v_add_f32_e32 v170, v170, v176
	v_fmac_f32_e32 v175, 0x3dbcf732, v168
	v_mul_f32_e32 v176, 0x3dbcf732, v169
	v_add_f32_e32 v174, v174, v178
	v_mul_f32_e32 v178, 0xbf4c4adb, v161
	v_add_f32_e32 v171, v171, v177
	v_add_f32_e32 v175, v175, v179
	v_mov_b32_e32 v177, v176
	v_fmac_f32_e32 v176, 0xbf7ee86f, v160
	v_mov_b32_e32 v179, v178
	v_fma_f32 v178, v168, s15, -v178
	v_fmac_f32_e32 v177, 0x3f7ee86f, v160
	v_add_f32_e32 v176, v176, v180
	v_fmac_f32_e32 v179, 0xbf1a4643, v168
	v_mul_f32_e32 v180, 0xbf1a4643, v169
	v_add_f32_e32 v178, v178, v182
	v_mul_f32_e32 v182, 0xbe3c28d5, v161
	v_add_f32_e32 v177, v177, v181
	;; [unrolled: 12-line block ×5, first 2 shown]
	v_add_f32_e32 v191, v191, v195
	v_mov_b32_e32 v193, v192
	v_fmac_f32_e32 v192, 0x3f763a35, v160
	v_mov_b32_e32 v195, v194
	v_fma_f32 v194, v168, s12, -v194
	v_mul_f32_e32 v161, 0x3eb8f4ab, v161
	v_fmac_f32_e32 v193, 0xbf763a35, v160
	v_add_f32_e32 v192, v192, v196
	v_fmac_f32_e32 v195, 0x3ee437d1, v168
	v_mul_f32_e32 v196, 0x3ee437d1, v169
	v_add_f32_e32 v194, v194, v198
	v_mov_b32_e32 v198, v161
	v_mul_f32_e32 v169, 0x3f6eb680, v169
	v_fma_f32 v161, v168, s4, -v161
	v_add_f32_e32 v193, v193, v197
	v_add_f32_e32 v195, v195, v199
	v_mov_b32_e32 v197, v196
	v_mov_b32_e32 v199, v169
	v_add_f32_e32 v136, v161, v136
	v_add_f32_e32 v161, v165, v163
	v_sub_f32_e32 v163, v163, v165
	v_fmac_f32_e32 v197, 0xbf65296c, v160
	v_fmac_f32_e32 v196, 0x3f65296c, v160
	v_fmac_f32_e32 v199, 0xbeb8f4ab, v160
	v_fmac_f32_e32 v169, 0x3eb8f4ab, v160
	v_add_f32_e32 v160, v164, v162
	v_sub_f32_e32 v162, v162, v164
	v_mul_f32_e32 v164, 0xbf65296c, v163
	v_mov_b32_e32 v165, v164
	v_fmac_f32_e32 v165, 0x3ee437d1, v160
	v_add_f32_e32 v165, v165, v167
	v_mul_f32_e32 v167, 0x3ee437d1, v161
	v_fmac_f32_e32 v198, 0x3f6eb680, v168
	v_mov_b32_e32 v168, v167
	v_fma_f32 v164, v160, s12, -v164
	v_fmac_f32_e32 v167, 0xbf65296c, v162
	v_add_f32_e32 v164, v164, v166
	v_add_f32_e32 v166, v167, v170
	v_mul_f32_e32 v167, 0xbf4c4adb, v163
	v_add_f32_e32 v137, v169, v137
	v_mov_b32_e32 v169, v167
	v_fma_f32 v167, v160, s15, -v167
	v_fmac_f32_e32 v168, 0x3f65296c, v162
	v_fmac_f32_e32 v169, 0xbf1a4643, v160
	v_mul_f32_e32 v170, 0xbf1a4643, v161
	v_add_f32_e32 v167, v167, v174
	v_mul_f32_e32 v174, 0x3e3c28d5, v163
	v_add_f32_e32 v168, v168, v171
	v_add_f32_e32 v169, v169, v175
	v_mov_b32_e32 v171, v170
	v_fmac_f32_e32 v170, 0xbf4c4adb, v162
	v_mov_b32_e32 v175, v174
	v_fma_f32 v174, v160, s17, -v174
	v_fmac_f32_e32 v171, 0x3f4c4adb, v162
	v_add_f32_e32 v170, v170, v176
	v_fmac_f32_e32 v175, 0xbf7ba420, v160
	v_mul_f32_e32 v176, 0xbf7ba420, v161
	v_add_f32_e32 v174, v174, v178
	v_mul_f32_e32 v178, 0x3f763a35, v163
	v_add_f32_e32 v171, v171, v177
	v_add_f32_e32 v175, v175, v179
	v_mov_b32_e32 v177, v176
	v_fmac_f32_e32 v176, 0x3e3c28d5, v162
	v_mov_b32_e32 v179, v178
	v_fma_f32 v178, v160, s14, -v178
	v_fmac_f32_e32 v177, 0xbe3c28d5, v162
	v_add_f32_e32 v176, v176, v180
	;; [unrolled: 12-line block ×4, first 2 shown]
	v_fmac_f32_e32 v187, 0x3f6eb680, v160
	v_mul_f32_e32 v188, 0x3f6eb680, v161
	v_add_f32_e32 v186, v186, v190
	v_mul_f32_e32 v190, 0xbf7ee86f, v163
	v_add_f32_e32 v185, v185, v189
	v_add_f32_e32 v187, v187, v191
	v_mov_b32_e32 v189, v188
	v_fmac_f32_e32 v188, 0xbeb8f4ab, v162
	v_mov_b32_e32 v191, v190
	v_add_f32_e32 v188, v188, v192
	v_fmac_f32_e32 v191, 0x3dbcf732, v160
	v_mul_f32_e32 v192, 0x3dbcf732, v161
	v_fma_f32 v190, v160, s13, -v190
	v_mul_f32_e32 v163, 0xbf06c442, v163
	v_mul_f32_e32 v161, 0xbf59a7d5, v161
	v_add_f32_e32 v191, v191, v195
	v_add_f32_e32 v190, v190, v194
	v_mov_b32_e32 v194, v163
	v_mov_b32_e32 v195, v161
	v_fmac_f32_e32 v161, 0xbf06c442, v162
	v_fmac_f32_e32 v194, 0xbf59a7d5, v160
	v_fma_f32 v160, v160, s16, -v163
	v_add_f32_e32 v137, v161, v137
	v_add_f32_e32 v161, v159, v153
	v_sub_f32_e32 v153, v153, v159
	v_fmac_f32_e32 v189, 0x3eb8f4ab, v162
	v_add_f32_e32 v136, v160, v136
	v_add_f32_e32 v160, v158, v152
	v_sub_f32_e32 v152, v152, v158
	v_mul_f32_e32 v158, 0xbf7ee86f, v153
	v_add_f32_e32 v189, v189, v193
	v_mov_b32_e32 v193, v192
	v_mov_b32_e32 v159, v158
	v_fma_f32 v158, v160, s13, -v158
	v_fmac_f32_e32 v193, 0x3f7ee86f, v162
	v_fmac_f32_e32 v192, 0xbf7ee86f, v162
	;; [unrolled: 1-line block ×4, first 2 shown]
	v_mul_f32_e32 v162, 0x3dbcf732, v161
	v_add_f32_e32 v158, v158, v164
	v_mul_f32_e32 v164, 0xbe3c28d5, v153
	v_add_f32_e32 v159, v159, v165
	v_mov_b32_e32 v163, v162
	v_fmac_f32_e32 v162, 0xbf7ee86f, v152
	v_mov_b32_e32 v165, v164
	v_fma_f32 v164, v160, s17, -v164
	v_fmac_f32_e32 v163, 0x3f7ee86f, v152
	v_add_f32_e32 v162, v162, v166
	v_fmac_f32_e32 v165, 0xbf7ba420, v160
	v_mul_f32_e32 v166, 0xbf7ba420, v161
	v_add_f32_e32 v164, v164, v167
	v_mul_f32_e32 v167, 0x3f763a35, v153
	v_add_f32_e32 v163, v163, v168
	v_add_f32_e32 v165, v165, v169
	v_mov_b32_e32 v168, v166
	v_fmac_f32_e32 v166, 0xbe3c28d5, v152
	v_mov_b32_e32 v169, v167
	v_fma_f32 v167, v160, s14, -v167
	v_fmac_f32_e32 v168, 0x3e3c28d5, v152
	v_add_f32_e32 v166, v166, v170
	v_fmac_f32_e32 v169, 0xbe8c1d8e, v160
	v_mul_f32_e32 v170, 0xbe8c1d8e, v161
	v_add_f32_e32 v167, v167, v174
	v_mul_f32_e32 v174, 0x3eb8f4ab, v153
	v_add_f32_e32 v168, v168, v171
	;; [unrolled: 12-line block ×5, first 2 shown]
	v_add_f32_e32 v183, v183, v187
	v_mov_b32_e32 v185, v184
	v_fmac_f32_e32 v184, 0xbf06c442, v152
	v_mov_b32_e32 v187, v186
	v_fma_f32 v186, v160, s15, -v186
	v_mul_f32_e32 v153, 0x3f2c7751, v153
	v_fmac_f32_e32 v185, 0x3f06c442, v152
	v_add_f32_e32 v184, v184, v188
	v_fmac_f32_e32 v187, 0xbf1a4643, v160
	v_mul_f32_e32 v188, 0xbf1a4643, v161
	v_add_f32_e32 v186, v186, v190
	v_mov_b32_e32 v190, v153
	v_mul_f32_e32 v161, 0x3f3d2fb0, v161
	v_fma_f32 v153, v160, s5, -v153
	v_add_f32_e32 v185, v185, v189
	v_add_f32_e32 v187, v187, v191
	v_mov_b32_e32 v189, v188
	v_mov_b32_e32 v191, v161
	v_add_f32_e32 v136, v153, v136
	v_add_f32_e32 v153, v157, v155
	v_sub_f32_e32 v155, v155, v157
	v_fmac_f32_e32 v189, 0xbf4c4adb, v152
	v_fmac_f32_e32 v188, 0x3f4c4adb, v152
	;; [unrolled: 1-line block ×4, first 2 shown]
	v_add_f32_e32 v152, v156, v154
	v_sub_f32_e32 v154, v154, v156
	v_mul_f32_e32 v156, 0xbf763a35, v155
	v_mov_b32_e32 v157, v156
	v_fmac_f32_e32 v157, 0xbe8c1d8e, v152
	v_add_f32_e32 v157, v157, v159
	v_mul_f32_e32 v159, 0xbe8c1d8e, v153
	v_fmac_f32_e32 v190, 0x3f3d2fb0, v160
	v_mov_b32_e32 v160, v159
	v_fma_f32 v156, v152, s14, -v156
	v_fmac_f32_e32 v159, 0xbf763a35, v154
	v_add_f32_e32 v156, v156, v158
	v_add_f32_e32 v158, v159, v162
	v_mul_f32_e32 v159, 0x3f06c442, v155
	v_add_f32_e32 v137, v161, v137
	v_mov_b32_e32 v161, v159
	v_fma_f32 v159, v152, s16, -v159
	v_fmac_f32_e32 v160, 0x3f763a35, v154
	v_fmac_f32_e32 v161, 0xbf59a7d5, v152
	v_mul_f32_e32 v162, 0xbf59a7d5, v153
	v_add_f32_e32 v159, v159, v164
	v_mul_f32_e32 v164, 0x3f2c7751, v155
	v_add_f32_e32 v160, v160, v163
	v_add_f32_e32 v161, v161, v165
	v_mov_b32_e32 v163, v162
	v_fmac_f32_e32 v162, 0x3f06c442, v154
	v_mov_b32_e32 v165, v164
	v_fma_f32 v164, v152, s5, -v164
	v_fmac_f32_e32 v163, 0xbf06c442, v154
	v_add_f32_e32 v162, v162, v166
	v_fmac_f32_e32 v165, 0x3f3d2fb0, v152
	v_mul_f32_e32 v166, 0x3f3d2fb0, v153
	v_add_f32_e32 v164, v164, v167
	v_mul_f32_e32 v167, 0xbf65296c, v155
	v_add_f32_e32 v163, v163, v168
	v_add_f32_e32 v165, v165, v169
	v_mov_b32_e32 v168, v166
	v_fmac_f32_e32 v166, 0x3f2c7751, v154
	v_mov_b32_e32 v169, v167
	v_fma_f32 v167, v152, s12, -v167
	v_fmac_f32_e32 v168, 0xbf2c7751, v154
	v_add_f32_e32 v166, v166, v170
	;; [unrolled: 12-line block ×4, first 2 shown]
	v_fmac_f32_e32 v179, 0x3dbcf732, v152
	v_mul_f32_e32 v180, 0x3dbcf732, v153
	v_add_f32_e32 v178, v178, v182
	v_mul_f32_e32 v182, 0xbeb8f4ab, v155
	v_add_f32_e32 v177, v177, v181
	v_add_f32_e32 v179, v179, v183
	v_mov_b32_e32 v181, v180
	v_fmac_f32_e32 v180, 0x3f7ee86f, v154
	v_mov_b32_e32 v183, v182
	v_add_f32_e32 v180, v180, v184
	v_fmac_f32_e32 v183, 0x3f6eb680, v152
	v_mul_f32_e32 v184, 0x3f6eb680, v153
	v_fma_f32 v182, v152, s4, -v182
	v_mul_f32_e32 v155, 0xbf4c4adb, v155
	v_mul_f32_e32 v153, 0xbf1a4643, v153
	v_add_f32_e32 v183, v183, v187
	v_add_f32_e32 v182, v182, v186
	v_mov_b32_e32 v186, v155
	v_mov_b32_e32 v187, v153
	v_fmac_f32_e32 v153, 0xbf4c4adb, v154
	v_fmac_f32_e32 v186, 0xbf1a4643, v152
	v_fma_f32 v152, v152, s15, -v155
	v_add_f32_e32 v137, v153, v137
	v_add_f32_e32 v153, v151, v145
	v_sub_f32_e32 v145, v145, v151
	v_fmac_f32_e32 v181, 0xbf7ee86f, v154
	v_add_f32_e32 v136, v152, v136
	v_add_f32_e32 v152, v150, v144
	v_sub_f32_e32 v144, v144, v150
	v_mul_f32_e32 v150, 0xbf4c4adb, v145
	v_add_f32_e32 v181, v181, v185
	v_mov_b32_e32 v185, v184
	v_mov_b32_e32 v151, v150
	v_fma_f32 v150, v152, s15, -v150
	v_fmac_f32_e32 v185, 0x3eb8f4ab, v154
	v_fmac_f32_e32 v184, 0xbeb8f4ab, v154
	v_fmac_f32_e32 v187, 0x3f4c4adb, v154
	v_fmac_f32_e32 v151, 0xbf1a4643, v152
	v_mul_f32_e32 v154, 0xbf1a4643, v153
	v_add_f32_e32 v150, v150, v156
	v_mul_f32_e32 v156, 0x3f763a35, v145
	v_add_f32_e32 v151, v151, v157
	v_mov_b32_e32 v155, v154
	v_fmac_f32_e32 v154, 0xbf4c4adb, v144
	v_mov_b32_e32 v157, v156
	v_fma_f32 v156, v152, s14, -v156
	v_fmac_f32_e32 v155, 0x3f4c4adb, v144
	v_add_f32_e32 v154, v154, v158
	v_fmac_f32_e32 v157, 0xbe8c1d8e, v152
	v_mul_f32_e32 v158, 0xbe8c1d8e, v153
	v_add_f32_e32 v156, v156, v159
	v_mul_f32_e32 v159, 0xbeb8f4ab, v145
	v_add_f32_e32 v155, v155, v160
	v_add_f32_e32 v157, v157, v161
	v_mov_b32_e32 v160, v158
	v_fmac_f32_e32 v158, 0x3f763a35, v144
	v_mov_b32_e32 v161, v159
	v_fma_f32 v159, v152, s4, -v159
	v_fmac_f32_e32 v160, 0xbf763a35, v144
	v_add_f32_e32 v158, v158, v162
	v_fmac_f32_e32 v161, 0x3f6eb680, v152
	v_mul_f32_e32 v162, 0x3f6eb680, v153
	v_add_f32_e32 v159, v159, v164
	v_mul_f32_e32 v164, 0xbf06c442, v145
	v_add_f32_e32 v160, v160, v163
	;; [unrolled: 12-line block ×5, first 2 shown]
	v_add_f32_e32 v175, v175, v179
	v_mov_b32_e32 v177, v176
	v_fmac_f32_e32 v176, 0xbf2c7751, v144
	v_mov_b32_e32 v179, v178
	v_fma_f32 v178, v152, s17, -v178
	v_mul_f32_e32 v145, 0x3f65296c, v145
	v_fmac_f32_e32 v177, 0x3f2c7751, v144
	v_add_f32_e32 v176, v176, v180
	v_fmac_f32_e32 v179, 0xbf7ba420, v152
	v_mul_f32_e32 v180, 0xbf7ba420, v153
	v_add_f32_e32 v178, v178, v182
	v_mov_b32_e32 v182, v145
	v_mul_f32_e32 v153, 0x3ee437d1, v153
	v_fma_f32 v145, v152, s12, -v145
	v_add_f32_e32 v177, v177, v181
	v_add_f32_e32 v179, v179, v183
	v_mov_b32_e32 v181, v180
	v_mov_b32_e32 v183, v153
	v_add_f32_e32 v136, v145, v136
	v_add_f32_e32 v145, v149, v147
	v_sub_f32_e32 v147, v147, v149
	v_fmac_f32_e32 v181, 0x3e3c28d5, v144
	v_fmac_f32_e32 v180, 0xbe3c28d5, v144
	;; [unrolled: 1-line block ×4, first 2 shown]
	v_add_f32_e32 v144, v148, v146
	v_sub_f32_e32 v146, v146, v148
	v_mul_f32_e32 v148, 0xbf06c442, v147
	v_mov_b32_e32 v149, v148
	v_fmac_f32_e32 v149, 0xbf59a7d5, v144
	v_add_f32_e32 v149, v149, v151
	v_mul_f32_e32 v151, 0xbf59a7d5, v145
	v_fmac_f32_e32 v182, 0x3ee437d1, v152
	v_mov_b32_e32 v152, v151
	v_fma_f32 v148, v144, s16, -v148
	v_fmac_f32_e32 v151, 0xbf06c442, v146
	v_add_f32_e32 v148, v148, v150
	v_add_f32_e32 v150, v151, v154
	v_mul_f32_e32 v151, 0x3f65296c, v147
	v_add_f32_e32 v137, v153, v137
	v_mov_b32_e32 v153, v151
	v_fma_f32 v151, v144, s12, -v151
	v_fmac_f32_e32 v153, 0x3ee437d1, v144
	v_add_f32_e32 v151, v151, v156
	v_mul_f32_e32 v156, 0xbf7ee86f, v147
	v_fmac_f32_e32 v152, 0x3f06c442, v146
	v_add_f32_e32 v153, v153, v157
	v_mul_f32_e32 v154, 0x3ee437d1, v145
	v_mov_b32_e32 v157, v156
	v_fma_f32 v156, v144, s13, -v156
	v_add_f32_e32 v152, v152, v155
	v_mov_b32_e32 v155, v154
	v_fmac_f32_e32 v154, 0x3f65296c, v146
	v_fmac_f32_e32 v157, 0x3dbcf732, v144
	v_add_f32_e32 v156, v156, v159
	v_mul_f32_e32 v159, 0x3f4c4adb, v147
	v_fmac_f32_e32 v155, 0xbf65296c, v146
	v_add_f32_e32 v154, v154, v158
	v_add_f32_e32 v157, v157, v161
	v_mul_f32_e32 v158, 0x3dbcf732, v145
	v_mov_b32_e32 v161, v159
	v_fma_f32 v159, v144, s15, -v159
	v_add_f32_e32 v155, v155, v160
	v_mov_b32_e32 v160, v158
	v_fmac_f32_e32 v158, 0xbf7ee86f, v146
	v_fmac_f32_e32 v161, 0xbf1a4643, v144
	v_add_f32_e32 v159, v159, v164
	v_mul_f32_e32 v164, 0xbeb8f4ab, v147
	v_fmac_f32_e32 v160, 0x3f7ee86f, v146
	v_add_f32_e32 v158, v158, v162
	v_add_f32_e32 v161, v161, v165
	v_mul_f32_e32 v162, 0xbf1a4643, v145
	v_mov_b32_e32 v165, v164
	v_fma_f32 v164, v144, s4, -v164
	v_add_f32_e32 v160, v160, v163
	v_mov_b32_e32 v163, v162
	v_fmac_f32_e32 v162, 0x3f4c4adb, v146
	v_fmac_f32_e32 v165, 0x3f6eb680, v144
	v_add_f32_e32 v164, v164, v167
	v_mul_f32_e32 v167, 0xbe3c28d5, v147
	v_add_f32_e32 v197, v197, v201
	v_add_f32_e32 v198, v198, v202
	v_fmac_f32_e32 v163, 0xbf4c4adb, v146
	v_add_f32_e32 v162, v162, v166
	v_add_f32_e32 v165, v165, v169
	v_mul_f32_e32 v166, 0x3f6eb680, v145
	v_mov_b32_e32 v169, v167
	v_fma_f32 v167, v144, s17, -v167
	v_add_f32_e32 v196, v196, v200
	v_add_f32_e32 v193, v193, v197
	;; [unrolled: 1-line block ×4, first 2 shown]
	v_mov_b32_e32 v168, v166
	v_fmac_f32_e32 v166, 0xbeb8f4ab, v146
	v_fmac_f32_e32 v169, 0xbf7ba420, v144
	v_add_f32_e32 v167, v167, v174
	v_mul_f32_e32 v174, 0x3f2c7751, v147
	v_add_f32_e32 v199, v199, v203
	v_add_f32_e32 v192, v192, v196
	;; [unrolled: 1-line block ×4, first 2 shown]
	v_fmac_f32_e32 v168, 0x3eb8f4ab, v146
	v_add_f32_e32 v166, v166, v170
	v_add_f32_e32 v169, v169, v175
	v_mul_f32_e32 v170, 0xbf7ba420, v145
	v_mov_b32_e32 v175, v174
	v_fma_f32 v174, v144, s5, -v174
	v_mul_f32_e32 v147, 0xbf763a35, v147
	v_add_f32_e32 v195, v195, v199
	v_add_f32_e32 v188, v188, v192
	;; [unrolled: 1-line block ×5, first 2 shown]
	v_mov_b32_e32 v171, v170
	v_fmac_f32_e32 v170, 0xbe3c28d5, v146
	v_add_f32_e32 v174, v174, v178
	v_mov_b32_e32 v178, v147
	v_add_f32_e32 v191, v191, v195
	v_add_f32_e32 v184, v184, v188
	;; [unrolled: 1-line block ×4, first 2 shown]
	v_fmac_f32_e32 v171, 0x3e3c28d5, v146
	v_add_f32_e32 v170, v170, v176
	v_fmac_f32_e32 v175, 0x3f3d2fb0, v144
	v_mul_f32_e32 v176, 0x3f3d2fb0, v145
	v_fmac_f32_e32 v178, 0xbe8c1d8e, v144
	v_mul_f32_e32 v145, 0xbe8c1d8e, v145
	v_sub_f32_e32 v185, v141, v143
	v_add_f32_e32 v187, v187, v191
	v_add_f32_e32 v180, v180, v184
	;; [unrolled: 1-line block ×4, first 2 shown]
	v_mov_b32_e32 v177, v176
	v_fmac_f32_e32 v176, 0x3f2c7751, v146
	v_add_f32_e32 v178, v178, v182
	v_mov_b32_e32 v179, v145
	v_fma_f32 v144, v144, s14, -v147
	v_add_f32_e32 v182, v142, v140
	v_sub_f32_e32 v184, v140, v142
	v_mul_f32_e32 v140, 0xbe3c28d5, v185
	v_add_f32_e32 v183, v183, v187
	v_add_f32_e32 v176, v176, v180
	v_fmac_f32_e32 v179, 0x3f763a35, v146
	v_add_f32_e32 v180, v144, v136
	v_mov_b32_e32 v136, v140
	v_add_f32_e32 v179, v179, v183
	v_add_f32_e32 v183, v143, v141
	v_fmac_f32_e32 v136, 0xbf7ba420, v182
	v_fma_f32 v140, v182, s17, -v140
	v_fmac_f32_e32 v177, 0xbf2c7751, v146
	v_fmac_f32_e32 v145, 0xbf763a35, v146
	v_add_f32_e32 v136, v136, v149
	v_mul_f32_e32 v141, 0xbf7ba420, v183
	v_add_f32_e32 v140, v140, v148
	v_mul_f32_e32 v148, 0xbf06c442, v185
	v_mul_f32_e32 v149, 0xbf59a7d5, v183
	v_add_f32_e32 v177, v177, v181
	v_add_f32_e32 v181, v145, v137
	v_mov_b32_e32 v137, v141
	v_mul_f32_e32 v144, 0x3eb8f4ab, v185
	v_mul_f32_e32 v145, 0x3f6eb680, v183
	v_mov_b32_e32 v146, v148
	v_mov_b32_e32 v147, v149
	v_fmac_f32_e32 v137, 0x3e3c28d5, v184
	v_mov_b32_e32 v142, v144
	v_mov_b32_e32 v143, v145
	v_fmac_f32_e32 v146, 0xbf59a7d5, v182
	v_fmac_f32_e32 v147, 0x3f06c442, v184
	v_fma_f32 v148, v182, s16, -v148
	v_add_f32_e32 v137, v137, v152
	v_fmac_f32_e32 v141, 0xbe3c28d5, v184
	v_fmac_f32_e32 v142, 0x3f6eb680, v182
	;; [unrolled: 1-line block ×4, first 2 shown]
	v_add_f32_e32 v146, v146, v157
	v_add_f32_e32 v147, v147, v160
	;; [unrolled: 1-line block ×3, first 2 shown]
	v_fmac_f32_e32 v149, 0xbf06c442, v184
	v_mul_f32_e32 v152, 0x3f2c7751, v185
	v_mul_f32_e32 v156, 0xbf4c4adb, v185
	;; [unrolled: 1-line block ×4, first 2 shown]
	v_add_f32_e32 v141, v141, v150
	v_add_f32_e32 v142, v142, v153
	;; [unrolled: 1-line block ×3, first 2 shown]
	v_fma_f32 v144, v182, s4, -v144
	v_add_f32_e32 v145, v145, v154
	v_add_f32_e32 v149, v149, v158
	v_mov_b32_e32 v150, v152
	v_mul_f32_e32 v153, 0x3f3d2fb0, v183
	v_mov_b32_e32 v154, v156
	v_mov_b32_e32 v155, v157
	;; [unrolled: 1-line block ×3, first 2 shown]
	v_add_f32_e32 v144, v144, v151
	v_fmac_f32_e32 v150, 0x3f3d2fb0, v182
	v_mov_b32_e32 v151, v153
	v_fmac_f32_e32 v154, 0xbf1a4643, v182
	v_fmac_f32_e32 v155, 0x3f4c4adb, v184
	v_fma_f32 v156, v182, s15, -v156
	v_fmac_f32_e32 v158, 0x3ee437d1, v182
	v_add_f32_e32 v150, v150, v161
	v_fmac_f32_e32 v151, 0xbf2c7751, v184
	v_fma_f32 v152, v182, s5, -v152
	v_fmac_f32_e32 v153, 0x3f2c7751, v184
	v_add_f32_e32 v154, v154, v165
	v_add_f32_e32 v155, v155, v168
	;; [unrolled: 1-line block ×3, first 2 shown]
	v_fmac_f32_e32 v157, 0xbf4c4adb, v184
	v_add_f32_e32 v158, v158, v169
	v_mul_f32_e32 v161, 0x3ee437d1, v183
	v_fma_f32 v160, v182, s12, -v160
	v_mul_f32_e32 v164, 0xbf763a35, v185
	v_mul_f32_e32 v165, 0xbe8c1d8e, v183
	;; [unrolled: 1-line block ×4, first 2 shown]
	v_add_f32_e32 v151, v151, v163
	v_add_f32_e32 v152, v152, v159
	;; [unrolled: 1-line block ×4, first 2 shown]
	v_mov_b32_e32 v159, v161
	v_add_f32_e32 v160, v160, v167
	v_mov_b32_e32 v162, v164
	v_mov_b32_e32 v163, v165
	;; [unrolled: 1-line block ×4, first 2 shown]
	v_add_f32_e32 v128, v128, v211
	v_add_f32_e32 v129, v129, v212
	v_fmac_f32_e32 v159, 0xbf65296c, v184
	v_fmac_f32_e32 v161, 0x3f65296c, v184
	;; [unrolled: 1-line block ×4, first 2 shown]
	v_fma_f32 v164, v182, s14, -v164
	v_fmac_f32_e32 v165, 0xbf763a35, v184
	v_fmac_f32_e32 v166, 0x3dbcf732, v182
	;; [unrolled: 1-line block ×3, first 2 shown]
	v_fma_f32 v168, v182, s13, -v168
	v_fmac_f32_e32 v169, 0x3f7ee86f, v184
	v_add_f32_e32 v159, v159, v171
	v_add_f32_e32 v161, v161, v170
	;; [unrolled: 1-line block ×10, first 2 shown]
	s_waitcnt lgkmcnt(0)
	; wave barrier
	ds_write2_b64 v216, v[128:129], v[136:137] offset1:1
	ds_write2_b64 v216, v[142:143], v[146:147] offset0:2 offset1:3
	ds_write2_b64 v216, v[150:151], v[154:155] offset0:4 offset1:5
	;; [unrolled: 1-line block ×7, first 2 shown]
	ds_write_b64 v216, v[140:141] offset:128
	s_and_saveexec_b64 s[2:3], s[0:1]
	s_cbranch_execz .LBB0_13
; %bb.12:
	buffer_store_dword v16, off, s[24:27], 0 offset:176 ; 4-byte Folded Spill
	s_nop 0
	buffer_store_dword v17, off, s[24:27], 0 offset:180 ; 4-byte Folded Spill
	buffer_store_dword v18, off, s[24:27], 0 offset:184 ; 4-byte Folded Spill
	;; [unrolled: 1-line block ×3, first 2 shown]
	buffer_load_dword v16, off, s[24:27], 0 ; 4-byte Folded Reload
	s_nop 0
	buffer_load_dword v17, off, s[24:27], 0 offset:4 ; 4-byte Folded Reload
	buffer_load_dword v18, off, s[24:27], 0 offset:8 ; 4-byte Folded Reload
	;; [unrolled: 1-line block ×3, first 2 shown]
	v_mov_b32_e32 v197, v23
	v_mov_b32_e32 v196, v22
	;; [unrolled: 1-line block ×4, first 2 shown]
	buffer_load_dword v20, off, s[24:27], 0 offset:16 ; 4-byte Folded Reload
	buffer_load_dword v21, off, s[24:27], 0 offset:20 ; 4-byte Folded Reload
	;; [unrolled: 1-line block ×4, first 2 shown]
	v_add_f32_e32 v174, v173, v7
	v_mul_f32_e32 v164, 0xbf7ba420, v174
	v_add_f32_e32 v175, v252, v123
	v_sub_f32_e32 v148, v6, v172
	v_mov_b32_e32 v128, v164
	v_mul_f32_e32 v165, 0x3f6eb680, v175
	v_fmac_f32_e32 v128, 0x3e3c28d5, v148
	v_sub_f32_e32 v149, v122, v251
	v_mov_b32_e32 v129, v165
	v_add_f32_e32 v176, v250, v125
	v_add_f32_e32 v128, v119, v128
	v_fmac_f32_e32 v129, 0xbeb8f4ab, v149
	v_mul_f32_e32 v166, 0xbf59a7d5, v176
	v_add_f32_e32 v128, v129, v128
	v_sub_f32_e32 v150, v124, v249
	v_mov_b32_e32 v129, v166
	v_fmac_f32_e32 v129, 0x3f06c442, v150
	v_add_f32_e32 v128, v129, v128
	v_add_f32_e32 v181, v121, v117
	v_mul_f32_e32 v171, 0x3dbcf732, v181
	v_sub_f32_e32 v155, v116, v120
	v_sub_f32_e32 v182, v7, v173
	v_add_f32_e32 v156, v172, v6
	v_sub_f32_e32 v183, v123, v252
	v_add_f32_e32 v157, v251, v122
	v_mul_f32_e32 v136, 0x3eb8f4ab, v183
	buffer_store_dword v136, off, s[24:27], 0 offset:272 ; 4-byte Folded Spill
	v_fmac_f32_e32 v136, 0x3f6eb680, v157
	v_sub_f32_e32 v184, v125, v250
	v_add_f32_e32 v158, v249, v124
	v_sub_f32_e32 v189, v117, v121
	v_add_f32_e32 v163, v120, v116
	v_mul_f32_e32 v232, 0xbf59a7d5, v174
	v_mul_f32_e32 v233, 0x3ee437d1, v175
	v_mov_b32_e32 v137, v233
	v_fmac_f32_e32 v137, 0xbf65296c, v149
	v_mul_f32_e32 v234, 0x3dbcf732, v176
	v_mul_f32_e32 v239, 0xbe8c1d8e, v181
	;; [unrolled: 1-line block ×5, first 2 shown]
	v_mov_b32_e32 v141, v199
	v_fmac_f32_e32 v141, 0xbf763a35, v149
	v_mul_f32_e32 v200, 0x3f6eb680, v176
	v_mov_b32_e32 v193, v27
	v_mov_b32_e32 v192, v26
	;; [unrolled: 1-line block ×6, first 2 shown]
	v_mul_f32_e32 v8, 0xbe8c1d8e, v174
	v_mul_f32_e32 v15, 0x3f3d2fb0, v176
	;; [unrolled: 1-line block ×3, first 2 shown]
	v_mov_b32_e32 v212, v209
	v_mov_b32_e32 v211, v208
	v_mul_f32_e32 v208, 0x3dbcf732, v174
	v_mul_f32_e32 v226, 0xbf7ba420, v175
	v_mov_b32_e32 v145, v226
	v_fmac_f32_e32 v145, 0x3e3c28d5, v149
	v_mul_f32_e32 v242, 0x3f3d2fb0, v181
	v_add_f32_e32 v6, v6, v118
	v_add_f32_e32 v6, v122, v6
	;; [unrolled: 1-line block ×9, first 2 shown]
	v_mul_f32_e32 v206, 0xbf65296c, v182
	v_add_f32_e32 v7, v133, v7
	v_add_f32_e32 v6, v26, v6
	;; [unrolled: 1-line block ×4, first 2 shown]
	s_waitcnt vmcnt(5)
	v_add_f32_e32 v177, v19, v133
	v_mul_f32_e32 v167, 0x3f3d2fb0, v177
	v_sub_f32_e32 v151, v132, v18
	v_mov_b32_e32 v129, v167
	v_add_f32_e32 v178, v17, v135
	v_fmac_f32_e32 v129, 0xbf2c7751, v151
	v_mul_f32_e32 v168, 0xbf1a4643, v178
	v_add_f32_e32 v128, v129, v128
	v_sub_f32_e32 v152, v134, v16
	v_mov_b32_e32 v129, v168
	s_waitcnt vmcnt(1)
	v_add_f32_e32 v179, v23, v127
	v_fmac_f32_e32 v129, 0x3f4c4adb, v152
	v_mul_f32_e32 v169, 0x3ee437d1, v179
	v_add_f32_e32 v128, v129, v128
	v_sub_f32_e32 v153, v126, v22
	v_mov_b32_e32 v129, v169
	v_add_f32_e32 v180, v21, v11
	v_fmac_f32_e32 v129, 0xbf65296c, v153
	v_mul_f32_e32 v170, 0xbe8c1d8e, v180
	v_add_f32_e32 v128, v129, v128
	v_sub_f32_e32 v154, v10, v20
	v_mov_b32_e32 v129, v170
	v_fmac_f32_e32 v129, 0x3f763a35, v154
	v_add_f32_e32 v128, v129, v128
	v_mov_b32_e32 v129, v171
	v_fmac_f32_e32 v129, 0xbf7ee86f, v155
	v_add_f32_e32 v1, v129, v128
	v_mul_f32_e32 v128, 0xbe3c28d5, v182
	buffer_store_dword v128, off, s[24:27], 0 offset:268 ; 4-byte Folded Spill
	v_fmac_f32_e32 v128, 0xbf7ba420, v156
	v_add_f32_e32 v128, v118, v128
	v_add_f32_e32 v128, v136, v128
	v_mul_f32_e32 v136, 0xbf06c442, v184
	buffer_store_dword v136, off, s[24:27], 0 offset:276 ; 4-byte Folded Spill
	v_fmac_f32_e32 v136, 0xbf59a7d5, v158
	v_sub_f32_e32 v185, v133, v19
	v_add_f32_e32 v128, v136, v128
	v_add_f32_e32 v159, v18, v132
	v_mul_f32_e32 v136, 0x3f2c7751, v185
	buffer_store_dword v136, off, s[24:27], 0 offset:280 ; 4-byte Folded Spill
	v_fmac_f32_e32 v136, 0x3f3d2fb0, v159
	v_sub_f32_e32 v186, v135, v17
	;; [unrolled: 6-line block ×4, first 2 shown]
	v_add_f32_e32 v128, v136, v128
	v_add_f32_e32 v162, v20, v10
	v_mul_f32_e32 v136, 0xbf763a35, v188
	buffer_store_dword v136, off, s[24:27], 0 offset:292 ; 4-byte Folded Spill
	v_fmac_f32_e32 v136, 0xbe8c1d8e, v162
	v_add_f32_e32 v128, v136, v128
	v_mul_f32_e32 v136, 0x3f7ee86f, v189
	buffer_store_dword v136, off, s[24:27], 0 offset:296 ; 4-byte Folded Spill
	v_fmac_f32_e32 v136, 0x3dbcf732, v163
	v_add_f32_e32 v0, v136, v128
	v_mov_b32_e32 v136, v232
	v_fmac_f32_e32 v136, 0x3f06c442, v148
	v_add_f32_e32 v136, v119, v136
	v_add_f32_e32 v136, v137, v136
	v_mov_b32_e32 v137, v234
	v_fmac_f32_e32 v137, 0x3f7ee86f, v150
	v_mul_f32_e32 v235, 0xbf1a4643, v177
	v_add_f32_e32 v136, v137, v136
	v_mov_b32_e32 v137, v235
	v_fmac_f32_e32 v137, 0xbf4c4adb, v151
	v_mul_f32_e32 v236, 0x3f6eb680, v178
	;; [unrolled: 4-line block ×4, first 2 shown]
	v_add_f32_e32 v136, v137, v136
	v_mov_b32_e32 v137, v238
	v_fmac_f32_e32 v137, 0xbf2c7751, v154
	v_add_f32_e32 v136, v137, v136
	v_mov_b32_e32 v137, v239
	buffer_store_dword v0, off, s[24:27], 0 offset:224 ; 4-byte Folded Spill
	s_nop 0
	buffer_store_dword v1, off, s[24:27], 0 offset:228 ; 4-byte Folded Spill
	v_fmac_f32_e32 v137, 0x3f763a35, v155
	v_add_f32_e32 v1, v137, v136
	v_mul_f32_e32 v136, 0xbf06c442, v182
	buffer_store_dword v136, off, s[24:27], 0 offset:300 ; 4-byte Folded Spill
	v_fmac_f32_e32 v136, 0xbf59a7d5, v156
	v_add_f32_e32 v136, v118, v136
	buffer_store_dword v140, off, s[24:27], 0 offset:304 ; 4-byte Folded Spill
	v_fmac_f32_e32 v140, 0x3ee437d1, v157
	v_add_f32_e32 v136, v140, v136
	v_mul_f32_e32 v140, 0xbf7ee86f, v184
	buffer_store_dword v140, off, s[24:27], 0 offset:308 ; 4-byte Folded Spill
	v_fmac_f32_e32 v140, 0x3dbcf732, v158
	v_add_f32_e32 v136, v140, v136
	v_mul_f32_e32 v140, 0x3f4c4adb, v185
	;; [unrolled: 4-line block ×6, first 2 shown]
	buffer_store_dword v140, off, s[24:27], 0 offset:328 ; 4-byte Folded Spill
	v_fmac_f32_e32 v140, 0xbe8c1d8e, v163
	v_add_f32_e32 v0, v140, v136
	v_mov_b32_e32 v140, v198
	v_fmac_f32_e32 v140, 0x3f4c4adb, v148
	v_add_f32_e32 v140, v119, v140
	v_add_f32_e32 v140, v141, v140
	v_mov_b32_e32 v141, v200
	v_fmac_f32_e32 v141, 0x3eb8f4ab, v150
	v_mul_f32_e32 v201, 0xbf59a7d5, v177
	v_add_f32_e32 v140, v141, v140
	v_mov_b32_e32 v141, v201
	v_fmac_f32_e32 v141, 0x3f06c442, v151
	v_mul_f32_e32 v202, 0x3dbcf732, v178
	v_add_f32_e32 v140, v141, v140
	v_mov_b32_e32 v141, v202
	v_fmac_f32_e32 v141, 0xbf7ee86f, v152
	v_mul_f32_e32 v203, 0x3f3d2fb0, v179
	v_add_f32_e32 v140, v141, v140
	v_mov_b32_e32 v141, v203
	buffer_store_dword v0, off, s[24:27], 0 offset:232 ; 4-byte Folded Spill
	s_nop 0
	buffer_store_dword v1, off, s[24:27], 0 offset:236 ; 4-byte Folded Spill
	v_fmac_f32_e32 v141, 0x3f2c7751, v153
	buffer_store_dword v204, off, s[24:27], 0 offset:192 ; 4-byte Folded Spill
	v_mul_f32_e32 v204, 0xbf7ba420, v180
	v_add_f32_e32 v140, v141, v140
	v_mov_b32_e32 v141, v204
	v_fmac_f32_e32 v141, 0x3e3c28d5, v154
	buffer_store_dword v205, off, s[24:27], 0 offset:332 ; 4-byte Folded Spill
	v_mul_f32_e32 v205, 0x3ee437d1, v181
	v_add_f32_e32 v140, v141, v140
	v_mov_b32_e32 v141, v205
	v_fmac_f32_e32 v141, 0xbf65296c, v155
	v_add_f32_e32 v1, v141, v140
	v_mul_f32_e32 v140, 0xbf4c4adb, v182
	v_mul_f32_e32 v10, 0x3f763a35, v183
	buffer_store_dword v140, off, s[24:27], 0 offset:336 ; 4-byte Folded Spill
	v_fmac_f32_e32 v140, 0xbf1a4643, v156
	v_mov_b32_e32 v142, v10
	v_add_f32_e32 v140, v118, v140
	v_fmac_f32_e32 v142, 0xbe8c1d8e, v157
	v_add_f32_e32 v140, v142, v140
	v_mul_f32_e32 v142, 0xbeb8f4ab, v184
	buffer_store_dword v142, off, s[24:27], 0 offset:340 ; 4-byte Folded Spill
	v_fmac_f32_e32 v142, 0x3f6eb680, v158
	v_add_f32_e32 v140, v142, v140
	v_mul_f32_e32 v142, 0xbf06c442, v185
	buffer_store_dword v142, off, s[24:27], 0 offset:344 ; 4-byte Folded Spill
	;; [unrolled: 4-line block ×4, first 2 shown]
	v_fmac_f32_e32 v142, 0x3f3d2fb0, v161
	v_mul_f32_e32 v9, 0xbe3c28d5, v188
	v_add_f32_e32 v140, v142, v140
	v_mov_b32_e32 v142, v9
	v_fmac_f32_e32 v142, 0xbf7ba420, v162
	v_add_f32_e32 v140, v142, v140
	v_mul_f32_e32 v142, 0x3f65296c, v189
	buffer_store_dword v142, off, s[24:27], 0 offset:356 ; 4-byte Folded Spill
	v_fmac_f32_e32 v142, 0x3ee437d1, v163
	v_add_f32_e32 v0, v142, v140
	v_mov_b32_e32 v142, v8
	v_mul_f32_e32 v11, 0xbf59a7d5, v175
	v_fmac_f32_e32 v142, 0x3f763a35, v148
	v_mov_b32_e32 v143, v11
	v_add_f32_e32 v142, v119, v142
	v_fmac_f32_e32 v143, 0xbf06c442, v149
	v_add_f32_e32 v142, v143, v142
	v_mov_b32_e32 v143, v15
	v_fmac_f32_e32 v143, 0xbf2c7751, v150
	v_mul_f32_e32 v253, 0x3ee437d1, v177
	v_add_f32_e32 v142, v143, v142
	v_mov_b32_e32 v143, v253
	v_fmac_f32_e32 v143, 0x3f65296c, v151
	v_mul_f32_e32 v254, 0xbf7ba420, v178
	;; [unrolled: 4-line block ×3, first 2 shown]
	buffer_store_dword v0, off, s[24:27], 0 offset:240 ; 4-byte Folded Spill
	s_nop 0
	buffer_store_dword v1, off, s[24:27], 0 offset:244 ; 4-byte Folded Spill
	v_add_f32_e32 v142, v143, v142
	v_mov_b32_e32 v143, v255
	buffer_store_dword v217, off, s[24:27], 0 offset:160 ; 4-byte Folded Spill
	s_nop 0
	buffer_store_dword v218, off, s[24:27], 0 offset:164 ; 4-byte Folded Spill
	buffer_store_dword v219, off, s[24:27], 0 offset:168 ; 4-byte Folded Spill
	;; [unrolled: 1-line block ×3, first 2 shown]
	v_fmac_f32_e32 v143, 0xbf7ee86f, v153
	v_mul_f32_e32 v217, 0x3f6eb680, v180
	v_add_f32_e32 v142, v143, v142
	v_mov_b32_e32 v143, v217
	v_fmac_f32_e32 v143, 0x3eb8f4ab, v154
	v_mul_f32_e32 v218, 0xbf1a4643, v181
	v_add_f32_e32 v142, v143, v142
	v_mov_b32_e32 v143, v218
	v_fmac_f32_e32 v143, 0x3f4c4adb, v155
	v_add_f32_e32 v1, v143, v142
	v_mul_f32_e32 v142, 0xbf763a35, v182
	buffer_store_dword v142, off, s[24:27], 0 offset:360 ; 4-byte Folded Spill
	v_fmac_f32_e32 v142, 0xbe8c1d8e, v156
	v_add_f32_e32 v142, v118, v142
	buffer_store_dword v144, off, s[24:27], 0 offset:364 ; 4-byte Folded Spill
	v_fmac_f32_e32 v144, 0xbf59a7d5, v157
	v_add_f32_e32 v142, v144, v142
	v_mul_f32_e32 v144, 0x3f2c7751, v184
	buffer_store_dword v144, off, s[24:27], 0 offset:368 ; 4-byte Folded Spill
	v_fmac_f32_e32 v144, 0x3f3d2fb0, v158
	v_add_f32_e32 v142, v144, v142
	v_mul_f32_e32 v144, 0xbf65296c, v185
	;; [unrolled: 4-line block ×6, first 2 shown]
	buffer_store_dword v144, off, s[24:27], 0 offset:388 ; 4-byte Folded Spill
	v_fmac_f32_e32 v144, 0xbf1a4643, v163
	v_add_f32_e32 v0, v144, v142
	v_mov_b32_e32 v144, v208
	v_fmac_f32_e32 v144, 0x3f7ee86f, v148
	buffer_store_dword v0, off, s[24:27], 0 offset:248 ; 4-byte Folded Spill
	s_nop 0
	buffer_store_dword v1, off, s[24:27], 0 offset:252 ; 4-byte Folded Spill
	v_add_f32_e32 v144, v119, v144
	buffer_store_dword v214, off, s[24:27], 0 offset:196 ; 4-byte Folded Spill
	v_mul_f32_e32 v214, 0xbe8c1d8e, v176
	v_add_f32_e32 v144, v145, v144
	v_mov_b32_e32 v145, v214
	v_fmac_f32_e32 v145, 0xbf763a35, v150
	v_mul_f32_e32 v209, 0x3f6eb680, v177
	v_add_f32_e32 v144, v145, v144
	v_mov_b32_e32 v145, v209
	v_fmac_f32_e32 v145, 0xbeb8f4ab, v151
	buffer_store_dword v210, off, s[24:27], 0 offset:256 ; 4-byte Folded Spill
	v_mul_f32_e32 v210, 0x3ee437d1, v178
	v_add_f32_e32 v144, v145, v144
	v_mov_b32_e32 v145, v210
	v_mov_b32_e32 v1, v172
	v_fmac_f32_e32 v145, 0x3f65296c, v152
	v_mov_b32_e32 v2, v173
	v_mul_f32_e32 v172, 0xbf59a7d5, v179
	v_add_f32_e32 v144, v145, v144
	v_mov_b32_e32 v145, v172
	v_fmac_f32_e32 v145, 0x3f06c442, v153
	v_mul_f32_e32 v173, 0xbf1a4643, v180
	v_add_f32_e32 v144, v145, v144
	v_mov_b32_e32 v145, v173
	v_fmac_f32_e32 v145, 0xbf4c4adb, v154
	v_add_f32_e32 v144, v145, v144
	v_mov_b32_e32 v145, v242
	v_fmac_f32_e32 v145, 0xbf2c7751, v155
	v_add_f32_e32 v4, v145, v144
	v_mul_f32_e32 v144, 0xbf7ee86f, v182
	buffer_store_dword v144, off, s[24:27], 0 offset:392 ; 4-byte Folded Spill
	v_fmac_f32_e32 v144, 0x3dbcf732, v156
	v_mul_f32_e32 v129, 0xbe3c28d5, v183
	v_add_f32_e32 v144, v118, v144
	buffer_store_dword v129, off, s[24:27], 0 offset:396 ; 4-byte Folded Spill
	v_fmac_f32_e32 v129, 0xbf7ba420, v157
	v_mul_f32_e32 v137, 0x3f763a35, v184
	buffer_store_dword v207, off, s[24:27], 0 offset:156 ; 4-byte Folded Spill
	v_mul_f32_e32 v207, 0x3eb8f4ab, v185
	v_add_f32_e32 v129, v129, v144
	buffer_store_dword v137, off, s[24:27], 0 offset:400 ; 4-byte Folded Spill
	v_fmac_f32_e32 v137, 0xbe8c1d8e, v158
	v_mov_b32_e32 v144, v207
	v_mul_f32_e32 v228, 0xbf65296c, v186
	v_add_f32_e32 v129, v137, v129
	v_fmac_f32_e32 v144, 0x3f6eb680, v159
	v_mov_b32_e32 v141, v228
	v_mul_f32_e32 v216, 0xbf06c442, v187
	v_add_f32_e32 v129, v144, v129
	v_fmac_f32_e32 v141, 0x3ee437d1, v160
	v_mov_b32_e32 v144, v216
	v_add_f32_e32 v129, v141, v129
	v_fmac_f32_e32 v144, 0xbf59a7d5, v161
	v_mul_f32_e32 v143, 0x3f4c4adb, v188
	v_add_f32_e32 v129, v144, v129
	buffer_store_dword v143, off, s[24:27], 0 offset:404 ; 4-byte Folded Spill
	v_fmac_f32_e32 v143, 0xbf1a4643, v162
	v_mul_f32_e32 v144, 0x3f2c7751, v189
	v_add_f32_e32 v129, v143, v129
	buffer_store_dword v144, off, s[24:27], 0 offset:408 ; 4-byte Folded Spill
	v_fmac_f32_e32 v144, 0x3f3d2fb0, v163
	v_add_f32_e32 v3, v144, v129
	v_mul_f32_e32 v129, 0x3ee437d1, v174
	buffer_store_dword v3, off, s[24:27], 0 offset:260 ; 4-byte Folded Spill
	s_nop 0
	buffer_store_dword v4, off, s[24:27], 0 offset:264 ; 4-byte Folded Spill
	v_mov_b32_e32 v146, v129
	v_mul_f32_e32 v0, 0xbf1a4643, v175
	v_fmac_f32_e32 v146, 0x3f65296c, v148
	v_mov_b32_e32 v3, v0
	buffer_store_dword v222, off, s[24:27], 0 offset:208 ; 4-byte Folded Spill
	buffer_store_dword v223, off, s[24:27], 0 offset:212 ; 4-byte Folded Spill
	v_mov_b32_e32 v222, v243
	v_add_f32_e32 v146, v119, v146
	v_fmac_f32_e32 v3, 0x3f4c4adb, v149
	v_mov_b32_e32 v223, v244
	v_mul_f32_e32 v243, 0xbf7ba420, v176
	v_add_f32_e32 v3, v3, v146
	v_mov_b32_e32 v146, v243
	v_fmac_f32_e32 v146, 0xbe3c28d5, v150
	v_mul_f32_e32 v244, 0xbe8c1d8e, v177
	v_add_f32_e32 v3, v146, v3
	v_mov_b32_e32 v146, v244
	v_mov_b32_e32 v140, v245
	v_fmac_f32_e32 v146, 0xbf763a35, v151
	v_mov_b32_e32 v141, v246
	v_mul_f32_e32 v245, 0x3f3d2fb0, v178
	v_add_f32_e32 v3, v146, v3
	v_mov_b32_e32 v146, v245
	v_fmac_f32_e32 v146, 0xbf2c7751, v152
	v_mul_f32_e32 v246, 0x3f6eb680, v179
	v_add_f32_e32 v3, v146, v3
	v_mov_b32_e32 v146, v246
	v_mov_b32_e32 v136, v247
	v_fmac_f32_e32 v146, 0x3eb8f4ab, v153
	v_mov_b32_e32 v137, v248
	v_mul_f32_e32 v247, 0x3dbcf732, v180
	v_add_f32_e32 v3, v146, v3
	v_mov_b32_e32 v146, v247
	v_fmac_f32_e32 v146, 0x3f7ee86f, v154
	v_mul_f32_e32 v248, 0xbf59a7d5, v181
	v_add_f32_e32 v3, v146, v3
	v_mov_b32_e32 v146, v248
	v_fmac_f32_e32 v146, 0x3f06c442, v155
	v_add_f32_e32 v220, v146, v3
	v_mov_b32_e32 v3, v206
	v_fmac_f32_e32 v3, 0x3ee437d1, v156
	v_mul_f32_e32 v144, 0xbf4c4adb, v183
	v_add_f32_e32 v7, v127, v7
	v_add_f32_e32 v6, v120, v6
	;; [unrolled: 1-line block ×3, first 2 shown]
	buffer_store_dword v144, off, s[24:27], 0 offset:412 ; 4-byte Folded Spill
	v_fmac_f32_e32 v144, 0xbf1a4643, v157
	v_mul_f32_e32 v146, 0x3e3c28d5, v184
	v_add_f32_e32 v7, v27, v7
	v_add_f32_e32 v6, v20, v6
	v_add_f32_e32 v3, v144, v3
	buffer_store_dword v146, off, s[24:27], 0 offset:416 ; 4-byte Folded Spill
	v_fmac_f32_e32 v146, 0xbf7ba420, v158
	v_add_f32_e32 v7, v117, v7
	v_add_f32_e32 v6, v22, v6
	;; [unrolled: 1-line block ×3, first 2 shown]
	v_mul_f32_e32 v146, 0x3f763a35, v185
	v_add_f32_e32 v7, v121, v7
	v_add_f32_e32 v6, v16, v6
	buffer_store_dword v146, off, s[24:27], 0 offset:420 ; 4-byte Folded Spill
	v_fmac_f32_e32 v146, 0xbe8c1d8e, v159
	v_add_f32_e32 v7, v21, v7
	v_add_f32_e32 v6, v18, v6
	;; [unrolled: 1-line block ×3, first 2 shown]
	v_mul_f32_e32 v146, 0x3f2c7751, v186
	v_add_f32_e32 v7, v23, v7
	v_add_f32_e32 v6, v249, v6
	buffer_store_dword v146, off, s[24:27], 0 offset:424 ; 4-byte Folded Spill
	buffer_store_dword v221, off, s[24:27], 0 offset:204 ; 4-byte Folded Spill
	buffer_store_dword v224, off, s[24:27], 0 offset:216 ; 4-byte Folded Spill
	buffer_store_dword v225, off, s[24:27], 0 offset:220 ; 4-byte Folded Spill
	buffer_store_dword v215, off, s[24:27], 0 offset:200 ; 4-byte Folded Spill
	v_add_f32_e32 v7, v17, v7
	v_add_f32_e32 v6, v251, v6
	;; [unrolled: 1-line block ×3, first 2 shown]
	buffer_load_dword v16, off, s[24:27], 0 offset:176 ; 4-byte Folded Reload
	buffer_load_dword v17, off, s[24:27], 0 offset:180 ; 4-byte Folded Reload
	;; [unrolled: 1-line block ×4, first 2 shown]
	v_add_f32_e32 v122, v1, v6
	buffer_load_dword v1, off, s[24:27], 0 offset:268 ; 4-byte Folded Reload
	v_fmac_f32_e32 v164, 0xbe3c28d5, v148
	v_add_f32_e32 v6, v119, v164
	v_fmac_f32_e32 v165, 0x3eb8f4ab, v149
	v_add_f32_e32 v6, v165, v6
	;; [unrolled: 2-line block ×8, first 2 shown]
	v_add_f32_e32 v7, v250, v7
	v_add_f32_e32 v7, v252, v7
	v_add_f32_e32 v123, v2, v7
	v_fmac_f32_e32 v232, 0xbf06c442, v148
	v_fmac_f32_e32 v233, 0x3f65296c, v149
	;; [unrolled: 1-line block ×16, first 2 shown]
	v_fma_f32 v10, v157, s14, -v10
	v_fma_f32 v9, v162, s17, -v9
	v_fmac_f32_e32 v8, 0xbf763a35, v148
	v_fmac_f32_e32 v11, 0x3f06c442, v149
	;; [unrolled: 1-line block ×11, first 2 shown]
	v_mul_f32_e32 v230, 0xbeb8f4ab, v187
	v_add_f32_e32 v3, v146, v3
	v_mov_b32_e32 v146, v230
	v_fmac_f32_e32 v146, 0x3f6eb680, v161
	v_mul_f32_e32 v147, 0xbf7ee86f, v188
	v_add_f32_e32 v3, v146, v3
	v_mov_b32_e32 v146, v147
	v_fmac_f32_e32 v146, 0x3dbcf732, v162
	;; [unrolled: 4-line block ×3, first 2 shown]
	v_add_f32_e32 v219, v146, v3
	v_mul_f32_e32 v3, 0x3f3d2fb0, v174
	v_mov_b32_e32 v240, v3
	v_mul_f32_e32 v130, 0x3dbcf732, v175
	v_fmac_f32_e32 v240, 0x3f2c7751, v148
	v_mov_b32_e32 v241, v130
	v_add_f32_e32 v240, v119, v240
	v_fmac_f32_e32 v241, 0x3f7ee86f, v149
	v_mul_f32_e32 v221, 0xbf1a4643, v176
	v_add_f32_e32 v240, v241, v240
	v_mov_b32_e32 v241, v221
	v_mul_f32_e32 v224, 0xbf7ba420, v177
	v_fmac_f32_e32 v241, 0x3f4c4adb, v150
	v_mov_b32_e32 v4, v224
	v_mul_f32_e32 v225, 0xbf59a7d5, v178
	v_add_f32_e32 v240, v241, v240
	v_fmac_f32_e32 v4, 0x3e3c28d5, v151
	v_mov_b32_e32 v5, v225
	v_add_f32_e32 v4, v4, v240
	s_waitcnt vmcnt(0)
	v_fma_f32 v6, v156, s17, -v1
	buffer_load_dword v1, off, s[24:27], 0 offset:272 ; 4-byte Folded Reload
	v_add_f32_e32 v6, v118, v6
	v_fmac_f32_e32 v5, 0xbf06c442, v152
	v_mul_f32_e32 v138, 0xbe8c1d8e, v179
	v_add_f32_e32 v4, v5, v4
	v_mov_b32_e32 v5, v138
	v_fmac_f32_e32 v5, 0xbf763a35, v153
	v_mul_f32_e32 v139, 0x3ee437d1, v180
	v_add_f32_e32 v4, v5, v4
	v_mov_b32_e32 v5, v139
	;; [unrolled: 4-line block ×4, first 2 shown]
	v_mul_f32_e32 v144, 0xbf7ee86f, v183
	v_fmac_f32_e32 v4, 0x3f3d2fb0, v156
	v_mov_b32_e32 v5, v144
	v_add_f32_e32 v4, v118, v4
	v_fmac_f32_e32 v5, 0x3dbcf732, v157
	v_mul_f32_e32 v231, 0xbf4c4adb, v184
	v_add_f32_e32 v4, v5, v4
	v_mov_b32_e32 v5, v231
	v_fmac_f32_e32 v5, 0xbf1a4643, v158
	v_mul_f32_e32 v215, 0xbe3c28d5, v185
	v_add_f32_e32 v4, v5, v4
	v_mov_b32_e32 v5, v215
	;; [unrolled: 4-line block ×7, first 2 shown]
	v_mul_f32_e32 v175, 0x3f3d2fb0, v175
	v_fmac_f32_e32 v4, 0x3eb8f4ab, v148
	v_mov_b32_e32 v5, v175
	v_add_f32_e32 v4, v119, v4
	v_fmac_f32_e32 v5, 0x3f2c7751, v149
	v_mul_f32_e32 v176, 0x3ee437d1, v176
	v_add_f32_e32 v4, v5, v4
	v_mov_b32_e32 v5, v176
	v_fmac_f32_e32 v5, 0x3f65296c, v150
	v_mul_f32_e32 v177, 0x3dbcf732, v177
	v_add_f32_e32 v4, v5, v4
	v_mov_b32_e32 v5, v177
	;; [unrolled: 4-line block ×3, first 2 shown]
	v_fmac_f32_e32 v5, 0x3f763a35, v152
	v_add_f32_e32 v4, v5, v4
	v_mul_f32_e32 v5, 0xbf1a4643, v179
	v_mov_b32_e32 v179, v5
	v_mul_f32_e32 v12, 0xbf59a7d5, v180
	v_fmac_f32_e32 v179, 0x3f4c4adb, v153
	v_mov_b32_e32 v13, v12
	v_add_f32_e32 v4, v179, v4
	v_fmac_f32_e32 v13, 0x3f06c442, v154
	v_add_f32_e32 v4, v13, v4
	v_mul_f32_e32 v13, 0xbf7ba420, v181
	v_mov_b32_e32 v14, v13
	v_fmac_f32_e32 v14, 0x3e3c28d5, v155
	v_mul_f32_e32 v128, 0xbeb8f4ab, v182
	s_waitcnt vmcnt(0)
	v_fma_f32 v7, v157, s4, -v1
	buffer_load_dword v1, off, s[24:27], 0 offset:276 ; 4-byte Folded Reload
	v_add_f32_e32 v6, v7, v6
	v_add_f32_e32 v180, v14, v4
	v_mov_b32_e32 v14, v128
	v_mul_f32_e32 v4, 0xbf2c7751, v183
	v_fmac_f32_e32 v14, 0x3f6eb680, v156
	v_mov_b32_e32 v179, v4
	v_add_f32_e32 v14, v118, v14
	v_fmac_f32_e32 v179, 0x3f3d2fb0, v157
	v_mul_f32_e32 v181, 0xbf65296c, v184
	v_add_f32_e32 v14, v179, v14
	v_mov_b32_e32 v179, v181
	v_fmac_f32_e32 v179, 0x3ee437d1, v158
	v_mul_f32_e32 v182, 0xbf7ee86f, v185
	v_add_f32_e32 v14, v179, v14
	v_mov_b32_e32 v179, v182
	;; [unrolled: 4-line block ×6, first 2 shown]
	v_fmac_f32_e32 v179, 0xbf7ba420, v163
	v_add_f32_e32 v179, v179, v14
	v_fmac_f32_e32 v129, 0xbf65296c, v148
	v_fmac_f32_e32 v0, 0xbf4c4adb, v149
	;; [unrolled: 1-line block ×16, first 2 shown]
	v_fma_f32 v2, v162, s12, -v131
	v_fmac_f32_e32 v174, 0xbeb8f4ab, v148
	v_fmac_f32_e32 v175, 0xbf2c7751, v149
	;; [unrolled: 1-line block ×14, first 2 shown]
	v_mov_b32_e32 v24, v190
	v_mov_b32_e32 v20, v194
	;; [unrolled: 1-line block ×8, first 2 shown]
	s_waitcnt vmcnt(0)
	v_fma_f32 v7, v158, s16, -v1
	buffer_load_dword v1, off, s[24:27], 0 offset:280 ; 4-byte Folded Reload
	v_add_f32_e32 v6, v7, v6
	s_waitcnt vmcnt(0)
	v_fma_f32 v7, v159, s5, -v1
	buffer_load_dword v1, off, s[24:27], 0 offset:284 ; 4-byte Folded Reload
	v_add_f32_e32 v6, v7, v6
	;; [unrolled: 4-line block ×6, first 2 shown]
	v_add_f32_e32 v6, v119, v232
	v_add_f32_e32 v6, v233, v6
	;; [unrolled: 1-line block ×8, first 2 shown]
	s_waitcnt vmcnt(0)
	v_fma_f32 v6, v156, s16, -v1
	buffer_load_dword v1, off, s[24:27], 0 offset:304 ; 4-byte Folded Reload
	v_add_f32_e32 v6, v118, v6
	s_waitcnt vmcnt(0)
	v_fma_f32 v7, v157, s12, -v1
	buffer_load_dword v1, off, s[24:27], 0 offset:308 ; 4-byte Folded Reload
	v_add_f32_e32 v6, v7, v6
	;; [unrolled: 4-line block ×7, first 2 shown]
	s_waitcnt vmcnt(0)
	v_fma_f32 v7, v163, s14, -v1
	v_add_f32_e32 v126, v7, v6
	v_add_f32_e32 v6, v119, v198
	;; [unrolled: 1-line block ×8, first 2 shown]
	buffer_load_dword v204, off, s[24:27], 0 offset:192 ; 4-byte Folded Reload
	v_add_f32_e32 v7, v205, v6
	buffer_load_dword v205, off, s[24:27], 0 offset:332 ; 4-byte Folded Reload
	buffer_load_dword v1, off, s[24:27], 0 offset:336 ; 4-byte Folded Reload
	s_waitcnt vmcnt(0)
	v_fma_f32 v6, v156, s15, -v1
	buffer_load_dword v1, off, s[24:27], 0 offset:340 ; 4-byte Folded Reload
	v_add_f32_e32 v6, v118, v6
	v_add_f32_e32 v6, v10, v6
	s_waitcnt vmcnt(0)
	v_fma_f32 v10, v158, s4, -v1
	buffer_load_dword v1, off, s[24:27], 0 offset:344 ; 4-byte Folded Reload
	v_add_f32_e32 v6, v10, v6
	s_waitcnt vmcnt(0)
	v_fma_f32 v10, v159, s16, -v1
	buffer_load_dword v1, off, s[24:27], 0 offset:348 ; 4-byte Folded Reload
	;; [unrolled: 4-line block ×4, first 2 shown]
	v_add_f32_e32 v6, v10, v6
	v_add_f32_e32 v6, v9, v6
	s_waitcnt vmcnt(0)
	v_fma_f32 v9, v163, s12, -v1
	buffer_load_dword v1, off, s[24:27], 0 offset:360 ; 4-byte Folded Reload
	v_add_f32_e32 v6, v9, v6
	v_add_f32_e32 v9, v119, v8
	;; [unrolled: 1-line block ×9, first 2 shown]
	s_waitcnt vmcnt(0)
	v_fma_f32 v10, v156, s14, -v1
	buffer_load_dword v1, off, s[24:27], 0 offset:364 ; 4-byte Folded Reload
	v_add_f32_e32 v10, v118, v10
	s_waitcnt vmcnt(0)
	v_fma_f32 v11, v157, s16, -v1
	buffer_load_dword v1, off, s[24:27], 0 offset:368 ; 4-byte Folded Reload
	v_add_f32_e32 v10, v11, v10
	;; [unrolled: 4-line block ×7, first 2 shown]
	s_waitcnt vmcnt(0)
	v_fma_f32 v8, v163, s15, -v1
	v_add_f32_e32 v8, v8, v10
	v_add_f32_e32 v10, v119, v208
	v_add_f32_e32 v10, v226, v10
	v_add_f32_e32 v10, v214, v10
	buffer_load_dword v214, off, s[24:27], 0 offset:196 ; 4-byte Folded Reload
	buffer_load_dword v1, off, s[24:27], 0 offset:392 ; 4-byte Folded Reload
	v_add_f32_e32 v10, v209, v10
	v_add_f32_e32 v10, v210, v10
	;; [unrolled: 1-line block ×5, first 2 shown]
	v_mov_b32_e32 v208, v211
	v_mov_b32_e32 v209, v212
	s_waitcnt vmcnt(0)
	v_fma_f32 v10, v156, s13, -v1
	buffer_load_dword v1, off, s[24:27], 0 offset:396 ; 4-byte Folded Reload
	v_add_f32_e32 v10, v118, v10
	s_waitcnt vmcnt(0)
	v_fma_f32 v14, v157, s17, -v1
	buffer_load_dword v1, off, s[24:27], 0 offset:400 ; 4-byte Folded Reload
	v_add_f32_e32 v10, v14, v10
	;; [unrolled: 4-line block ×3, first 2 shown]
	v_fma_f32 v14, v159, s4, -v207
	v_add_f32_e32 v10, v14, v10
	v_fma_f32 v14, v160, s12, -v228
	v_add_f32_e32 v10, v14, v10
	;; [unrolled: 2-line block ×3, first 2 shown]
	buffer_load_dword v207, off, s[24:27], 0 offset:156 ; 4-byte Folded Reload
	s_waitcnt vmcnt(1)
	v_fma_f32 v14, v162, s15, -v1
	buffer_load_dword v1, off, s[24:27], 0 offset:408 ; 4-byte Folded Reload
	v_add_f32_e32 v10, v14, v10
	s_waitcnt vmcnt(0)
	v_fma_f32 v14, v163, s5, -v1
	v_add_f32_e32 v10, v14, v10
	v_add_f32_e32 v14, v119, v129
	;; [unrolled: 1-line block ×5, first 2 shown]
	v_mov_b32_e32 v244, v223
	v_mov_b32_e32 v243, v222
	buffer_load_dword v223, off, s[24:27], 0 offset:212 ; 4-byte Folded Reload
	buffer_load_dword v222, off, s[24:27], 0 offset:208 ; 4-byte Folded Reload
	;; [unrolled: 1-line block ×3, first 2 shown]
	v_add_f32_e32 v0, v245, v0
	v_add_f32_e32 v0, v246, v0
	;; [unrolled: 1-line block ×4, first 2 shown]
	v_fma_f32 v0, v156, s12, -v206
	v_add_f32_e32 v0, v118, v0
	v_mov_b32_e32 v246, v141
	v_mov_b32_e32 v248, v137
	;; [unrolled: 1-line block ×4, first 2 shown]
	s_waitcnt vmcnt(0)
	v_fma_f32 v14, v157, s15, -v1
	buffer_load_dword v1, off, s[24:27], 0 offset:416 ; 4-byte Folded Reload
	v_add_f32_e32 v0, v14, v0
	s_waitcnt vmcnt(0)
	v_fma_f32 v14, v158, s17, -v1
	buffer_load_dword v1, off, s[24:27], 0 offset:420 ; 4-byte Folded Reload
	v_add_f32_e32 v0, v14, v0
	;; [unrolled: 4-line block ×3, first 2 shown]
	s_waitcnt vmcnt(0)
	v_fma_f32 v14, v160, s5, -v1
	v_add_f32_e32 v0, v14, v0
	v_fma_f32 v14, v161, s4, -v230
	v_add_f32_e32 v0, v14, v0
	v_fma_f32 v14, v162, s13, -v147
	v_add_f32_e32 v0, v14, v0
	v_fma_f32 v14, v163, s16, -v145
	v_add_f32_e32 v116, v14, v0
	v_add_f32_e32 v0, v119, v3
	v_add_f32_e32 v0, v130, v0
	;; [unrolled: 1-line block ×8, first 2 shown]
	v_fma_f32 v0, v156, s5, -v227
	v_add_f32_e32 v0, v118, v0
	v_fma_f32 v3, v157, s13, -v144
	v_add_f32_e32 v0, v3, v0
	;; [unrolled: 2-line block ×6, first 2 shown]
	v_add_f32_e32 v0, v2, v0
	v_fma_f32 v1, v163, s4, -v146
	v_add_f32_e32 v120, v1, v0
	v_add_f32_e32 v0, v119, v174
	;; [unrolled: 1-line block ×9, first 2 shown]
	v_fma_f32 v0, v156, s4, -v128
	v_add_f32_e32 v0, v118, v0
	v_fma_f32 v1, v157, s5, -v4
	v_add_f32_e32 v0, v1, v0
	;; [unrolled: 2-line block ×7, first 2 shown]
	v_fma_f32 v1, v163, s17, -v186
	buffer_load_dword v221, off, s[24:27], 0 offset:204 ; 4-byte Folded Reload
	buffer_load_dword v224, off, s[24:27], 0 offset:216 ; 4-byte Folded Reload
	buffer_load_dword v225, off, s[24:27], 0 offset:220 ; 4-byte Folded Reload
	v_add_f32_e32 v118, v1, v0
	buffer_load_dword v0, off, s[24:27], 0 offset:256 ; 4-byte Folded Reload
	buffer_load_dword v215, off, s[24:27], 0 offset:200 ; 4-byte Folded Reload
	s_waitcnt vmcnt(1)
	v_lshlrev_b32_e32 v0, 3, v0
	ds_write2_b64 v0, v[122:123], v[179:180] offset1:1
	ds_write2_b64 v0, v[240:241], v[219:220] offset0:2 offset1:3
	buffer_load_dword v217, off, s[24:27], 0 offset:160 ; 4-byte Folded Reload
	buffer_load_dword v218, off, s[24:27], 0 offset:164 ; 4-byte Folded Reload
	;; [unrolled: 1-line block ×8, first 2 shown]
	s_waitcnt vmcnt(0)
	ds_write2_b64 v0, v[3:4], v[1:2] offset0:4 offset1:5
	buffer_load_dword v1, off, s[24:27], 0 offset:232 ; 4-byte Folded Reload
	buffer_load_dword v2, off, s[24:27], 0 offset:236 ; 4-byte Folded Reload
	;; [unrolled: 1-line block ×4, first 2 shown]
	s_waitcnt vmcnt(0)
	ds_write2_b64 v0, v[3:4], v[1:2] offset0:6 offset1:7
	buffer_load_dword v1, off, s[24:27], 0 offset:224 ; 4-byte Folded Reload
	buffer_load_dword v2, off, s[24:27], 0 offset:228 ; 4-byte Folded Reload
	s_waitcnt vmcnt(0)
	ds_write2_b64 v0, v[1:2], v[124:125] offset0:8 offset1:9
	ds_write2_b64 v0, v[126:127], v[6:7] offset0:10 offset1:11
	;; [unrolled: 1-line block ×4, first 2 shown]
	ds_write_b64 v0, v[118:119] offset:128
.LBB0_13:
	s_or_b64 exec, exec, s[2:3]
	v_add_u32_e32 v10, 0x800, v213
	buffer_load_dword v166, off, s[24:27], 0 offset:112 ; 4-byte Folded Reload
	buffer_load_dword v167, off, s[24:27], 0 offset:116 ; 4-byte Folded Reload
	s_waitcnt lgkmcnt(0)
	; wave barrier
	s_waitcnt lgkmcnt(0)
	ds_read2_b64 v[116:119], v10 offset0:152 offset1:203
	v_add_u32_e32 v8, 0x1800, v213
	ds_read2_b64 v[120:123], v8 offset0:150 offset1:201
	v_add_u32_e32 v11, 0xc00, v213
	ds_read2_b64 v[0:3], v213 offset1:51
	ds_read2_b64 v[124:127], v11 offset0:126 offset1:177
	ds_read2_b64 v[128:131], v213 offset0:102 offset1:153
	v_add_u32_e32 v7, 0x1c00, v213
	ds_read2_b64 v[132:135], v7 offset0:124 offset1:175
	s_waitcnt lgkmcnt(5)
	v_mul_f32_e32 v15, v218, v119
	v_mul_f32_e32 v12, v218, v118
	v_add_u32_e32 v9, 0x1000, v213
	v_fmac_f32_e32 v15, v217, v118
	v_fma_f32 v118, v217, v119, -v12
	s_waitcnt lgkmcnt(4)
	v_mul_f32_e32 v119, v220, v121
	v_mul_f32_e32 v12, v220, v120
	ds_read2_b64 v[136:139], v9 offset0:100 offset1:151
	ds_read2_b64 v[140:143], v213 offset0:204 offset1:255
	v_fmac_f32_e32 v119, v219, v120
	v_fma_f32 v120, v219, v121, -v12
	s_waitcnt lgkmcnt(4)
	v_mul_f32_e32 v121, v17, v125
	v_mul_f32_e32 v12, v17, v124
	v_fmac_f32_e32 v121, v16, v124
	v_fma_f32 v124, v16, v125, -v12
	v_mul_f32_e32 v12, v19, v122
	v_mul_f32_e32 v125, v19, v123
	v_fma_f32 v19, v18, v123, -v12
	v_mul_f32_e32 v12, v21, v126
	v_fmac_f32_e32 v125, v18, v122
	v_mul_f32_e32 v122, v21, v127
	v_fma_f32 v123, v20, v127, -v12
	s_waitcnt lgkmcnt(2)
	v_mul_f32_e32 v12, v23, v132
	v_fmac_f32_e32 v122, v20, v126
	v_mul_f32_e32 v126, v23, v133
	v_fma_f32 v23, v22, v133, -v12
	s_waitcnt lgkmcnt(1)
	v_mul_f32_e32 v12, v25, v136
	v_fmac_f32_e32 v126, v22, v132
	v_fma_f32 v132, v24, v137, -v12
	v_mul_f32_e32 v133, v27, v135
	v_mul_f32_e32 v12, v27, v134
	v_add_u32_e32 v6, 0x2000, v213
	v_mul_f32_e32 v127, v25, v137
	v_fmac_f32_e32 v133, v26, v134
	v_fma_f32 v134, v26, v135, -v12
	v_mul_f32_e32 v12, v29, v138
	ds_read2_b64 v[144:147], v6 offset0:98 offset1:149
	ds_read2_b64 v[148:151], v9 offset0:202 offset1:253
	;; [unrolled: 1-line block ×5, first 2 shown]
	ds_read_b64 v[164:165], v213 offset:10608
	v_fmac_f32_e32 v127, v24, v136
	v_mul_f32_e32 v135, v29, v139
	v_fma_f32 v136, v28, v139, -v12
	s_waitcnt lgkmcnt(5)
	v_mul_f32_e32 v12, v31, v144
	v_fmac_f32_e32 v135, v28, v138
	v_mul_f32_e32 v137, v31, v145
	v_fma_f32 v138, v30, v145, -v12
	s_waitcnt lgkmcnt(4)
	v_mul_f32_e32 v12, v33, v148
	v_fmac_f32_e32 v137, v30, v144
	v_fma_f32 v144, v32, v149, -v12
	v_mul_f32_e32 v145, v35, v147
	v_mul_f32_e32 v12, v35, v146
	;; [unrolled: 1-line block ×3, first 2 shown]
	v_fmac_f32_e32 v145, v34, v146
	v_fma_f32 v146, v34, v147, -v12
	v_mul_f32_e32 v12, v37, v150
	v_fmac_f32_e32 v139, v32, v148
	v_mul_f32_e32 v147, v37, v151
	v_fma_f32 v148, v36, v151, -v12
	s_waitcnt lgkmcnt(2)
	v_mul_f32_e32 v12, v39, v156
	v_fmac_f32_e32 v147, v36, v150
	v_mul_f32_e32 v149, v39, v157
	v_fma_f32 v150, v38, v157, -v12
	s_waitcnt lgkmcnt(1)
	v_mul_f32_e32 v12, v41, v160
	v_fmac_f32_e32 v149, v38, v156
	v_fma_f32 v156, v40, v161, -v12
	v_mul_f32_e32 v157, v43, v159
	v_mul_f32_e32 v12, v43, v158
	;; [unrolled: 1-line block ×3, first 2 shown]
	v_fmac_f32_e32 v157, v42, v158
	v_fma_f32 v158, v42, v159, -v12
	v_mul_f32_e32 v12, v45, v162
	v_fmac_f32_e32 v151, v40, v160
	v_mul_f32_e32 v159, v45, v163
	v_fma_f32 v160, v44, v163, -v12
	s_waitcnt lgkmcnt(0)
	v_mul_f32_e32 v12, v47, v164
	v_add_f32_e32 v13, v15, v119
	v_fmac_f32_e32 v159, v44, v162
	v_fma_f32 v162, v46, v165, -v12
	v_add_f32_e32 v12, v0, v15
	v_fma_f32 v0, -0.5, v13, v0
	v_sub_f32_e32 v13, v118, v120
	v_mov_b32_e32 v14, v0
	v_add_f32_e32 v16, v118, v120
	v_fmac_f32_e32 v14, 0xbf5db3d7, v13
	v_fmac_f32_e32 v0, 0x3f5db3d7, v13
	v_add_f32_e32 v13, v1, v118
	v_fma_f32 v1, -0.5, v16, v1
	v_sub_f32_e32 v16, v15, v119
	v_mov_b32_e32 v15, v1
	v_add_f32_e32 v17, v121, v125
	v_fmac_f32_e32 v15, 0x3f5db3d7, v16
	v_fmac_f32_e32 v1, 0xbf5db3d7, v16
	v_add_f32_e32 v16, v2, v121
	v_fma_f32 v2, -0.5, v17, v2
	v_sub_f32_e32 v17, v124, v19
	v_mov_b32_e32 v18, v2
	v_fmac_f32_e32 v18, 0xbf5db3d7, v17
	v_fmac_f32_e32 v2, 0x3f5db3d7, v17
	v_add_f32_e32 v17, v3, v124
	v_add_f32_e32 v17, v17, v19
	;; [unrolled: 1-line block ×3, first 2 shown]
	v_fmac_f32_e32 v3, -0.5, v19
	v_add_f32_e32 v12, v12, v119
	v_add_f32_e32 v13, v13, v120
	v_sub_f32_e32 v20, v121, v125
	v_mov_b32_e32 v19, v3
	v_add_f32_e32 v16, v16, v125
	v_fmac_f32_e32 v19, 0x3f5db3d7, v20
	v_fmac_f32_e32 v3, 0xbf5db3d7, v20
	s_waitcnt lgkmcnt(0)
	; wave barrier
	ds_write2_b64 v204, v[12:13], v[14:15] offset1:17
	ds_write_b64 v204, v[0:1] offset:272
	ds_write2_b64 v205, v[16:17], v[18:19] offset1:17
	ds_write_b64 v205, v[2:3] offset:272
	buffer_load_dword v0, off, s[24:27], 0 offset:152 ; 4-byte Folded Reload
	v_add_f32_e32 v21, v122, v126
	v_fma_f32 v22, -0.5, v21, v128
	v_add_f32_e32 v43, v148, v150
	v_mul_f32_e32 v161, v47, v165
	v_sub_f32_e32 v21, v123, v23
	v_mov_b32_e32 v24, v22
	v_fma_f32 v43, -0.5, v43, v153
	v_fmac_f32_e32 v161, v46, v164
	v_fmac_f32_e32 v24, 0xbf5db3d7, v21
	;; [unrolled: 1-line block ×3, first 2 shown]
	v_add_f32_e32 v21, v129, v123
	v_sub_f32_e32 v46, v147, v149
	v_mov_b32_e32 v45, v43
	v_add_f32_e32 v47, v151, v157
	v_add_f32_e32 v21, v21, v23
	;; [unrolled: 1-line block ×4, first 2 shown]
	v_fmac_f32_e32 v45, 0x3f5db3d7, v46
	v_fmac_f32_e32 v43, 0xbf5db3d7, v46
	v_add_f32_e32 v46, v154, v151
	v_fma_f32 v154, -0.5, v47, v154
	v_fma_f32 v23, -0.5, v23, v129
	v_fma_f32 v33, -0.5, v33, v141
	v_sub_f32_e32 v47, v156, v158
	v_mov_b32_e32 v118, v154
	v_add_f32_e32 v119, v156, v158
	v_sub_f32_e32 v26, v122, v126
	v_mov_b32_e32 v25, v23
	v_add_f32_e32 v27, v127, v133
	;; [unrolled: 3-line block ×3, first 2 shown]
	v_fmac_f32_e32 v118, 0xbf5db3d7, v47
	v_fmac_f32_e32 v154, 0x3f5db3d7, v47
	v_add_f32_e32 v47, v155, v156
	v_fmac_f32_e32 v155, -0.5, v119
	v_fmac_f32_e32 v25, 0x3f5db3d7, v26
	v_fmac_f32_e32 v23, 0xbf5db3d7, v26
	v_add_f32_e32 v26, v130, v127
	v_fma_f32 v130, -0.5, v27, v130
	v_fmac_f32_e32 v35, 0x3f5db3d7, v36
	v_fmac_f32_e32 v33, 0xbf5db3d7, v36
	v_add_f32_e32 v36, v142, v139
	v_fma_f32 v142, -0.5, v37, v142
	v_sub_f32_e32 v120, v151, v157
	v_mov_b32_e32 v119, v155
	v_add_f32_e32 v121, v159, v161
	v_sub_f32_e32 v27, v132, v134
	v_mov_b32_e32 v28, v130
	v_add_f32_e32 v29, v132, v134
	v_add_f32_e32 v31, v135, v137
	v_sub_f32_e32 v37, v144, v146
	v_mov_b32_e32 v38, v142
	v_add_f32_e32 v39, v144, v146
	v_add_f32_e32 v41, v147, v149
	v_fmac_f32_e32 v119, 0x3f5db3d7, v120
	v_fmac_f32_e32 v155, 0xbf5db3d7, v120
	v_add_f32_e32 v120, v116, v159
	v_fma_f32 v116, -0.5, v121, v116
	v_add_f32_e32 v20, v128, v122
	v_fmac_f32_e32 v28, 0xbf5db3d7, v27
	v_fmac_f32_e32 v130, 0x3f5db3d7, v27
	v_add_f32_e32 v27, v131, v132
	v_fmac_f32_e32 v131, -0.5, v29
	v_fma_f32 v32, -0.5, v31, v140
	v_fmac_f32_e32 v38, 0xbf5db3d7, v37
	v_fmac_f32_e32 v142, 0x3f5db3d7, v37
	v_add_f32_e32 v37, v143, v144
	v_fmac_f32_e32 v143, -0.5, v39
	v_fma_f32 v42, -0.5, v41, v152
	v_sub_f32_e32 v121, v160, v162
	v_mov_b32_e32 v122, v116
	v_add_f32_e32 v123, v160, v162
	v_sub_f32_e32 v30, v127, v133
	v_mov_b32_e32 v29, v131
	v_sub_f32_e32 v31, v136, v138
	v_mov_b32_e32 v34, v32
	;; [unrolled: 2-line block ×4, first 2 shown]
	v_fmac_f32_e32 v122, 0xbf5db3d7, v121
	v_fmac_f32_e32 v116, 0x3f5db3d7, v121
	v_add_f32_e32 v121, v117, v160
	v_fmac_f32_e32 v117, -0.5, v123
	v_fmac_f32_e32 v29, 0x3f5db3d7, v30
	v_fmac_f32_e32 v131, 0xbf5db3d7, v30
	v_add_f32_e32 v30, v140, v135
	v_fmac_f32_e32 v34, 0xbf5db3d7, v31
	v_fmac_f32_e32 v32, 0x3f5db3d7, v31
	v_add_f32_e32 v31, v141, v136
	;; [unrolled: 3-line block ×4, first 2 shown]
	v_sub_f32_e32 v124, v159, v161
	v_mov_b32_e32 v123, v117
	v_add_f32_e32 v20, v20, v126
	v_add_f32_e32 v26, v26, v133
	;; [unrolled: 1-line block ×13, first 2 shown]
	v_fmac_f32_e32 v123, 0x3f5db3d7, v124
	v_fmac_f32_e32 v117, 0xbf5db3d7, v124
	s_waitcnt vmcnt(0)
	ds_write2_b64 v0, v[20:21], v[24:25] offset1:17
	ds_write_b64 v0, v[22:23] offset:272
	ds_write2_b64 v214, v[26:27], v[28:29] offset1:17
	ds_write_b64 v214, v[130:131] offset:272
	;; [unrolled: 2-line block ×7, first 2 shown]
	s_waitcnt lgkmcnt(0)
	; wave barrier
	s_waitcnt lgkmcnt(0)
	ds_read2_b64 v[12:15], v213 offset1:51
	ds_read2_b64 v[0:3], v213 offset0:102 offset1:153
	ds_read2_b64 v[16:19], v10 offset0:50 offset1:101
	;; [unrolled: 1-line block ×12, first 2 shown]
	ds_read_b64 v[128:129], v213 offset:10608
	s_waitcnt lgkmcnt(12)
	v_mul_f32_e32 v130, v61, v3
	v_fmac_f32_e32 v130, v60, v2
	v_mul_f32_e32 v2, v61, v2
	v_fma_f32 v2, v60, v3, -v2
	s_waitcnt lgkmcnt(11)
	v_mul_f32_e32 v3, v63, v17
	v_fmac_f32_e32 v3, v62, v16
	v_mul_f32_e32 v16, v63, v16
	v_fma_f32 v16, v62, v17, -v16
	;; [unrolled: 5-line block ×3, first 2 shown]
	s_waitcnt lgkmcnt(9)
	v_mul_f32_e32 v23, v59, v24
	v_fma_f32 v132, v58, v25, -v23
	s_waitcnt lgkmcnt(8)
	v_mul_f32_e32 v133, v53, v31
	v_mul_f32_e32 v23, v53, v30
	;; [unrolled: 1-line block ×3, first 2 shown]
	v_fmac_f32_e32 v133, v52, v30
	v_fma_f32 v30, v52, v31, -v23
	s_waitcnt lgkmcnt(7)
	v_mul_f32_e32 v23, v55, v33
	v_fmac_f32_e32 v131, v58, v24
	v_fmac_f32_e32 v23, v54, v32
	v_mul_f32_e32 v24, v55, v32
	s_waitcnt lgkmcnt(5)
	v_mul_f32_e32 v32, v51, v41
	v_fma_f32 v24, v54, v33, -v24
	v_mul_f32_e32 v25, v49, v39
	v_fmac_f32_e32 v32, v50, v40
	v_mul_f32_e32 v33, v51, v40
	v_mul_f32_e32 v40, v63, v19
	v_fmac_f32_e32 v25, v48, v38
	v_mul_f32_e32 v31, v49, v38
	s_waitcnt lgkmcnt(4)
	v_mul_f32_e32 v38, v61, v45
	v_fmac_f32_e32 v40, v62, v18
	v_mul_f32_e32 v18, v63, v18
	v_fma_f32 v31, v48, v39, -v31
	v_fma_f32 v33, v50, v41, -v33
	v_fmac_f32_e32 v38, v60, v44
	v_mul_f32_e32 v39, v61, v44
	v_fma_f32 v41, v62, v19, -v18
	s_waitcnt lgkmcnt(3)
	v_mul_f32_e32 v44, v57, v117
	v_mul_f32_e32 v18, v57, v116
	v_fma_f32 v39, v60, v45, -v39
	v_fmac_f32_e32 v44, v56, v116
	v_fma_f32 v45, v56, v117, -v18
	v_mul_f32_e32 v56, v59, v27
	v_mul_f32_e32 v18, v59, v26
	v_fmac_f32_e32 v56, v58, v26
	v_fma_f32 v57, v58, v27, -v18
	s_waitcnt lgkmcnt(2)
	v_mul_f32_e32 v58, v53, v121
	v_mul_f32_e32 v18, v53, v120
	v_fmac_f32_e32 v58, v52, v120
	v_fma_f32 v52, v52, v121, -v18
	v_mul_f32_e32 v53, v55, v35
	v_mul_f32_e32 v18, v55, v34
	v_fmac_f32_e32 v53, v54, v34
	v_fma_f32 v34, v54, v35, -v18
	s_waitcnt lgkmcnt(1)
	v_mul_f32_e32 v35, v49, v125
	v_mul_f32_e32 v18, v49, v124
	v_fmac_f32_e32 v35, v48, v124
	v_fma_f32 v48, v48, v125, -v18
	v_mul_f32_e32 v49, v51, v43
	v_mul_f32_e32 v18, v51, v42
	v_fmac_f32_e32 v49, v50, v42
	v_fma_f32 v42, v50, v43, -v18
	;; [unrolled: 4-line block ×3, first 2 shown]
	v_mul_f32_e32 v18, v79, v20
	v_fma_f32 v51, v78, v21, -v18
	v_mul_f32_e32 v18, v69, v118
	v_fma_f32 v55, v68, v119, -v18
	;; [unrolled: 2-line block ×3, first 2 shown]
	v_mul_f32_e32 v18, v73, v122
	v_mul_f32_e32 v54, v69, v119
	;; [unrolled: 1-line block ×4, first 2 shown]
	v_fma_f32 v62, v72, v123, -v18
	v_mul_f32_e32 v18, v75, v36
	v_sub_f32_e32 v26, v130, v32
	v_sub_f32_e32 v27, v2, v33
	v_mul_f32_e32 v47, v79, v21
	v_fmac_f32_e32 v54, v68, v118
	v_fmac_f32_e32 v59, v70, v28
	;; [unrolled: 1-line block ×3, first 2 shown]
	v_mul_f32_e32 v63, v75, v37
	v_fma_f32 v68, v74, v37, -v18
	v_add_f32_e32 v28, v130, v32
	v_add_f32_e32 v29, v2, v33
	;; [unrolled: 1-line block ×4, first 2 shown]
	v_sub_f32_e32 v32, v3, v25
	v_sub_f32_e32 v31, v16, v31
	;; [unrolled: 1-line block ×3, first 2 shown]
	v_mul_f32_e32 v17, 0x3f248dbb, v26
	v_mul_f32_e32 v16, 0x3f248dbb, v27
	v_sub_f32_e32 v71, v131, v133
	v_sub_f32_e32 v72, v132, v30
	v_fmac_f32_e32 v47, v78, v20
	v_sub_f32_e32 v70, v22, v24
	v_fmac_f32_e32 v17, 0x3f7c1c5c, v32
	v_fmac_f32_e32 v16, 0x3f7c1c5c, v31
	v_mul_f32_e32 v21, 0xbf248dbb, v71
	v_mul_f32_e32 v20, 0xbf248dbb, v72
	v_mad_u64_u32 v[4:5], s[2:3], s10, v166, 0
	v_mul_f32_e32 v69, v65, v127
	v_mul_f32_e32 v18, v65, v126
	v_fmac_f32_e32 v17, 0x3f5db3d7, v33
	v_fmac_f32_e32 v16, 0x3f5db3d7, v70
	;; [unrolled: 1-line block ×5, first 2 shown]
	v_fma_f32 v64, v64, v127, -v18
	s_waitcnt lgkmcnt(0)
	v_mul_f32_e32 v65, v67, v129
	v_mul_f32_e32 v18, v67, v128
	v_add_f32_e32 v67, v22, v24
	v_fmac_f32_e32 v17, 0x3eaf1d44, v71
	v_fmac_f32_e32 v16, 0x3eaf1d44, v72
	s_mov_b32 s2, 0xbf248dbb
	v_fmac_f32_e32 v21, 0xbf5db3d7, v33
	v_fmac_f32_e32 v20, 0xbf5db3d7, v70
	v_add_f32_e32 v22, v71, v26
	v_add_f32_e32 v23, v72, v27
	v_mul_f32_e32 v71, 0x3f7c1c5c, v71
	v_mul_f32_e32 v72, 0x3f7c1c5c, v72
	v_fmac_f32_e32 v63, v74, v36
	v_add_f32_e32 v36, v3, v25
	v_fmac_f32_e32 v21, 0x3eaf1d44, v32
	v_fmac_f32_e32 v20, 0x3eaf1d44, v31
	v_sub_f32_e32 v24, v22, v32
	v_sub_f32_e32 v25, v23, v31
	v_fma_f32 v32, v32, s2, -v71
	v_fma_f32 v31, v31, s2, -v72
	v_add_f32_e32 v77, v36, v28
	v_add_f32_e32 v78, v37, v29
	v_fmac_f32_e32 v32, 0x3f5db3d7, v33
	v_fmac_f32_e32 v31, 0x3f5db3d7, v70
	;; [unrolled: 1-line block ×4, first 2 shown]
	v_add_f32_e32 v26, v43, v77
	v_add_f32_e32 v27, v67, v78
	;; [unrolled: 1-line block ×4, first 2 shown]
	v_fmac_f32_e32 v65, v66, v128
	v_fma_f32 v66, v66, v129, -v18
	v_mov_b32_e32 v2, v12
	v_add_f32_e32 v73, v131, v133
	v_mov_b32_e32 v18, v12
	v_add_f32_e32 v26, v133, v26
	v_add_f32_e32 v27, v30, v27
	v_fmac_f32_e32 v2, 0x3f441b7d, v28
	v_mov_b32_e32 v3, v13
	v_add_f32_e32 v74, v132, v30
	v_fmac_f32_e32 v18, 0x3f441b7d, v73
	v_mov_b32_e32 v19, v13
	v_add_f32_e32 v22, v43, v12
	v_add_f32_e32 v23, v67, v13
	;; [unrolled: 1-line block ×4, first 2 shown]
	v_fmac_f32_e32 v12, 0x3f441b7d, v36
	v_fmac_f32_e32 v13, 0x3f441b7d, v37
	;; [unrolled: 1-line block ×9, first 2 shown]
	v_fmac_f32_e32 v2, -0.5, v43
	v_fmac_f32_e32 v19, 0x3e31d0d4, v29
	v_fmac_f32_e32 v18, -0.5, v43
	v_add_f32_e32 v116, v74, v78
	v_fmac_f32_e32 v12, -0.5, v43
	v_fmac_f32_e32 v13, -0.5, v67
	v_sub_f32_e32 v43, v38, v49
	v_fmac_f32_e32 v3, -0.5, v67
	v_fmac_f32_e32 v2, 0xbf708fb2, v73
	v_fmac_f32_e32 v19, -0.5, v67
	v_add_f32_e32 v79, v73, v77
	v_fmac_f32_e32 v23, -0.5, v116
	v_fmac_f32_e32 v13, 0xbf708fb2, v29
	v_add_f32_e32 v67, v38, v49
	v_add_f32_e32 v73, v44, v53
	v_sub_f32_e32 v49, v40, v35
	v_sub_f32_e32 v44, v44, v53
	v_mul_f32_e32 v33, 0x3f248dbb, v43
	v_sub_f32_e32 v53, v56, v58
	v_fmac_f32_e32 v19, 0xbf708fb2, v37
	v_mul_f32_e32 v75, 0x3f5db3d7, v24
	v_fmac_f32_e32 v22, -0.5, v79
	v_fmac_f32_e32 v23, 0x3f5db3d7, v24
	v_add_f32_e32 v13, v32, v13
	v_add_f32_e32 v70, v39, v42
	v_sub_f32_e32 v42, v39, v42
	v_fmac_f32_e32 v33, 0x3f7c1c5c, v49
	v_mul_f32_e32 v37, 0xbf248dbb, v53
	v_mul_f32_e32 v76, 0x3f5db3d7, v25
	v_fmac_f32_e32 v22, 0xbf5db3d7, v25
	v_fma_f32 v25, -2.0, v75, v23
	v_fma_f32 v29, -2.0, v32, v13
	v_add_f32_e32 v72, v41, v48
	v_sub_f32_e32 v48, v41, v48
	v_mul_f32_e32 v32, 0x3f248dbb, v42
	v_fmac_f32_e32 v33, 0x3f5db3d7, v44
	v_sub_f32_e32 v75, v57, v52
	v_fmac_f32_e32 v37, 0x3f7c1c5c, v43
	v_fmac_f32_e32 v3, 0xbf708fb2, v74
	;; [unrolled: 1-line block ×3, first 2 shown]
	v_add_f32_e32 v74, v45, v34
	v_sub_f32_e32 v45, v45, v34
	v_fmac_f32_e32 v32, 0x3f7c1c5c, v48
	v_fmac_f32_e32 v33, 0x3eaf1d44, v53
	v_mul_f32_e32 v36, 0xbf248dbb, v75
	v_fmac_f32_e32 v37, 0xbf5db3d7, v44
	v_add_f32_e32 v38, v53, v43
	v_mul_f32_e32 v53, 0x3f7c1c5c, v53
	v_add_f32_e32 v71, v40, v35
	v_fmac_f32_e32 v32, 0x3f5db3d7, v45
	v_fmac_f32_e32 v36, 0x3f7c1c5c, v42
	;; [unrolled: 1-line block ×3, first 2 shown]
	v_sub_f32_e32 v40, v38, v49
	v_fma_f32 v49, v49, s2, -v53
	v_fmac_f32_e32 v32, 0x3eaf1d44, v75
	v_fmac_f32_e32 v36, 0xbf5db3d7, v45
	v_add_f32_e32 v39, v75, v42
	v_add_f32_e32 v117, v72, v70
	v_mul_f32_e32 v75, 0x3f7c1c5c, v75
	v_fmac_f32_e32 v49, 0x3f5db3d7, v44
	v_fmac_f32_e32 v36, 0x3eaf1d44, v48
	v_sub_f32_e32 v41, v39, v48
	v_fma_f32 v48, v48, s2, -v75
	v_fmac_f32_e32 v49, 0x3eaf1d44, v43
	v_add_f32_e32 v43, v74, v117
	v_fmac_f32_e32 v12, 0xbf708fb2, v28
	v_add_f32_e32 v116, v71, v67
	v_fmac_f32_e32 v48, 0x3f5db3d7, v45
	v_add_f32_e32 v43, v57, v43
	v_sub_f32_e32 v12, v12, v31
	v_fmac_f32_e32 v48, 0x3eaf1d44, v42
	v_add_f32_e32 v42, v73, v116
	v_add_f32_e32 v43, v52, v43
	v_fma_f32 v28, 2.0, v31, v12
	v_mov_b32_e32 v31, v15
	v_add_f32_e32 v77, v57, v52
	v_mov_b32_e32 v35, v15
	v_add_f32_e32 v39, v74, v15
	v_add_f32_e32 v42, v56, v42
	;; [unrolled: 1-line block ×3, first 2 shown]
	v_fmac_f32_e32 v15, 0x3f441b7d, v72
	v_fma_f32 v24, 2.0, v76, v22
	v_add_f32_e32 v76, v56, v58
	v_mov_b32_e32 v34, v14
	v_add_f32_e32 v42, v58, v42
	v_fmac_f32_e32 v15, 0x3e31d0d4, v77
	v_mov_b32_e32 v30, v14
	v_fmac_f32_e32 v34, 0x3f441b7d, v76
	v_add_f32_e32 v38, v73, v14
	v_add_f32_e32 v42, v42, v14
	v_fmac_f32_e32 v14, 0x3f441b7d, v71
	v_fmac_f32_e32 v15, -0.5, v74
	v_fmac_f32_e32 v34, 0x3e31d0d4, v67
	v_fmac_f32_e32 v14, 0x3e31d0d4, v76
	;; [unrolled: 1-line block ×5, first 2 shown]
	v_fmac_f32_e32 v34, -0.5, v73
	v_fmac_f32_e32 v14, -0.5, v73
	v_add_f32_e32 v15, v49, v15
	v_sub_f32_e32 v58, v50, v65
	v_fmac_f32_e32 v31, 0x3f441b7d, v70
	v_fmac_f32_e32 v30, 0x3e31d0d4, v71
	;; [unrolled: 1-line block ×5, first 2 shown]
	v_fma_f32 v45, -2.0, v49, v15
	v_add_f32_e32 v67, v50, v65
	v_add_f32_e32 v70, v46, v66
	;; [unrolled: 1-line block ×3, first 2 shown]
	v_sub_f32_e32 v65, v46, v66
	v_sub_f32_e32 v66, v47, v69
	v_mul_f32_e32 v49, 0x3f248dbb, v58
	v_sub_f32_e32 v69, v59, v61
	v_fmac_f32_e32 v30, -0.5, v73
	v_add_f32_e32 v73, v54, v63
	v_sub_f32_e32 v63, v54, v63
	v_fmac_f32_e32 v49, 0x3f7c1c5c, v66
	v_mul_f32_e32 v53, 0xbf248dbb, v69
	v_fmac_f32_e32 v49, 0x3f5db3d7, v63
	v_fmac_f32_e32 v53, 0x3f7c1c5c, v58
	v_fmac_f32_e32 v35, -0.5, v74
	v_fmac_f32_e32 v49, 0x3eaf1d44, v69
	v_fmac_f32_e32 v53, 0xbf5db3d7, v63
	v_add_f32_e32 v54, v69, v58
	v_mul_f32_e32 v69, 0x3f7c1c5c, v69
	v_fmac_f32_e32 v31, 0x3e31d0d4, v72
	v_fmac_f32_e32 v35, 0xbf708fb2, v72
	v_add_f32_e32 v72, v51, v64
	v_fmac_f32_e32 v53, 0x3eaf1d44, v66
	v_sub_f32_e32 v56, v54, v66
	v_fma_f32 v66, v66, s2, -v69
	v_fmac_f32_e32 v31, -0.5, v74
	v_add_f32_e32 v118, v76, v116
	v_add_f32_e32 v119, v77, v117
	v_sub_f32_e32 v14, v14, v48
	v_add_f32_e32 v74, v55, v68
	v_add_f32_e32 v116, v71, v67
	;; [unrolled: 1-line block ×3, first 2 shown]
	v_fmac_f32_e32 v66, 0x3f5db3d7, v63
	v_fma_f32 v44, 2.0, v48, v14
	v_sub_f32_e32 v64, v51, v64
	v_mul_f32_e32 v48, 0x3f248dbb, v65
	v_sub_f32_e32 v75, v60, v62
	v_fmac_f32_e32 v66, 0x3eaf1d44, v58
	v_add_f32_e32 v58, v73, v116
	v_add_f32_e32 v63, v74, v117
	v_fmac_f32_e32 v30, 0xbf708fb2, v76
	v_sub_f32_e32 v68, v55, v68
	v_fmac_f32_e32 v48, 0x3f7c1c5c, v64
	v_mov_b32_e32 v46, v0
	v_mov_b32_e32 v47, v1
	v_add_f32_e32 v76, v59, v61
	v_mul_f32_e32 v52, 0xbf248dbb, v75
	v_add_f32_e32 v58, v59, v58
	v_add_f32_e32 v59, v60, v63
	v_fmac_f32_e32 v31, 0xbf708fb2, v77
	v_fmac_f32_e32 v48, 0x3f5db3d7, v68
	v_fmac_f32_e32 v46, 0x3f441b7d, v67
	v_fmac_f32_e32 v47, 0x3f441b7d, v70
	v_add_f32_e32 v77, v60, v62
	v_fmac_f32_e32 v52, 0x3f7c1c5c, v65
	v_mov_b32_e32 v50, v0
	v_mov_b32_e32 v51, v1
	v_add_f32_e32 v55, v75, v65
	v_add_f32_e32 v58, v61, v58
	;; [unrolled: 1-line block ×3, first 2 shown]
	v_fmac_f32_e32 v48, 0x3eaf1d44, v75
	v_fmac_f32_e32 v46, 0x3e31d0d4, v71
	;; [unrolled: 1-line block ×6, first 2 shown]
	v_sub_f32_e32 v57, v55, v64
	v_add_f32_e32 v54, v73, v0
	v_add_f32_e32 v55, v74, v1
	v_mul_f32_e32 v75, 0x3f7c1c5c, v75
	v_add_f32_e32 v58, v58, v0
	v_add_f32_e32 v59, v59, v1
	v_fmac_f32_e32 v0, 0x3f441b7d, v71
	v_fmac_f32_e32 v1, 0x3f441b7d, v72
	v_fmac_f32_e32 v38, -0.5, v118
	v_fmac_f32_e32 v39, -0.5, v119
	;; [unrolled: 1-line block ×4, first 2 shown]
	v_fmac_f32_e32 v52, 0x3eaf1d44, v64
	v_fmac_f32_e32 v50, 0x3e31d0d4, v67
	;; [unrolled: 1-line block ×3, first 2 shown]
	v_fma_f32 v64, v64, s2, -v75
	v_fmac_f32_e32 v0, 0x3e31d0d4, v76
	v_fmac_f32_e32 v1, 0x3e31d0d4, v77
	v_sub_f32_e32 v2, v2, v16
	v_add_f32_e32 v3, v17, v3
	v_sub_f32_e32 v18, v18, v20
	v_add_f32_e32 v19, v21, v19
	;; [unrolled: 2-line block ×4, first 2 shown]
	v_mul_f32_e32 v78, 0x3f5db3d7, v40
	v_mul_f32_e32 v79, 0x3f5db3d7, v41
	v_fmac_f32_e32 v38, 0xbf5db3d7, v41
	v_fmac_f32_e32 v39, 0x3f5db3d7, v40
	;; [unrolled: 1-line block ×4, first 2 shown]
	v_fmac_f32_e32 v50, -0.5, v73
	v_fmac_f32_e32 v51, -0.5, v74
	v_add_f32_e32 v118, v76, v116
	v_add_f32_e32 v119, v77, v117
	v_fmac_f32_e32 v64, 0x3f5db3d7, v68
	v_fmac_f32_e32 v0, -0.5, v73
	v_fmac_f32_e32 v1, -0.5, v74
	v_fma_f32 v16, 2.0, v16, v2
	v_fma_f32 v17, -2.0, v17, v3
	v_fma_f32 v20, 2.0, v20, v18
	v_fma_f32 v21, -2.0, v21, v19
	;; [unrolled: 2-line block ×5, first 2 shown]
	v_sub_f32_e32 v46, v46, v48
	v_add_f32_e32 v47, v49, v47
	v_fmac_f32_e32 v50, 0xbf708fb2, v71
	v_fmac_f32_e32 v51, 0xbf708fb2, v72
	v_fmac_f32_e32 v54, -0.5, v118
	v_fmac_f32_e32 v55, -0.5, v119
	v_fmac_f32_e32 v64, 0x3eaf1d44, v65
	v_fmac_f32_e32 v0, 0xbf708fb2, v67
	v_fmac_f32_e32 v1, 0xbf708fb2, v70
	s_waitcnt lgkmcnt(0)
	; wave barrier
	ds_write2_b64 v213, v[26:27], v[2:3] offset1:51
	ds_write2_b64 v213, v[18:19], v[22:23] offset0:102 offset1:153
	ds_write2_b64 v213, v[12:13], v[28:29] offset0:204 offset1:255
	;; [unrolled: 1-line block ×8, first 2 shown]
	v_add_u32_e32 v2, 0x1800, v225
	v_sub_f32_e32 v50, v50, v52
	v_add_f32_e32 v51, v53, v51
	v_mul_f32_e32 v78, 0x3f5db3d7, v56
	v_mul_f32_e32 v79, 0x3f5db3d7, v57
	v_fmac_f32_e32 v54, 0xbf5db3d7, v57
	v_fmac_f32_e32 v55, 0x3f5db3d7, v56
	v_sub_f32_e32 v0, v0, v64
	v_add_f32_e32 v1, v66, v1
	ds_write2_b64 v2, v[58:59], v[46:47] offset0:150 offset1:201
	v_add_u32_e32 v2, 0x1c00, v225
	v_fma_f32 v48, 2.0, v48, v46
	v_fma_f32 v49, -2.0, v49, v47
	v_fma_f32 v52, 2.0, v52, v50
	v_fma_f32 v53, -2.0, v53, v51
	;; [unrolled: 2-line block ×4, first 2 shown]
	ds_write2_b64 v2, v[50:51], v[54:55] offset0:124 offset1:175
	v_add_u32_e32 v2, 0x2000, v225
	ds_write2_b64 v2, v[0:1], v[60:61] offset0:98 offset1:149
	ds_write2_b64 v2, v[56:57], v[52:53] offset0:200 offset1:251
	ds_write_b64 v225, v[48:49] offset:10608
	s_waitcnt lgkmcnt(0)
	; wave barrier
	s_waitcnt lgkmcnt(0)
	ds_read2_b64 v[0:3], v213 offset1:51
	ds_read2_b64 v[12:15], v10 offset0:152 offset1:203
	ds_read2_b64 v[16:19], v8 offset0:150 offset1:201
	;; [unrolled: 1-line block ×12, first 2 shown]
	ds_read_b64 v[60:61], v213 offset:10608
	s_waitcnt lgkmcnt(12)
	v_mul_f32_e32 v62, v81, v15
	v_fmac_f32_e32 v62, v80, v14
	v_mul_f32_e32 v14, v81, v14
	v_fma_f32 v63, v80, v15, -v14
	s_waitcnt lgkmcnt(11)
	v_mul_f32_e32 v14, v83, v16
	v_mul_f32_e32 v64, v83, v17
	v_fma_f32 v17, v82, v17, -v14
	s_waitcnt lgkmcnt(10)
	v_mul_f32_e32 v14, v85, v20
	v_mul_f32_e32 v65, v85, v21
	v_fma_f32 v21, v84, v21, -v14
	v_mul_f32_e32 v14, v87, v18
	v_fma_f32 v67, v86, v19, -v14
	v_mul_f32_e32 v14, v89, v22
	v_fma_f32 v69, v88, v23, -v14
	s_waitcnt lgkmcnt(8)
	v_mul_f32_e32 v14, v91, v28
	v_mul_f32_e32 v70, v91, v29
	v_fma_f32 v29, v90, v29, -v14
	s_waitcnt lgkmcnt(7)
	v_mul_f32_e32 v14, v93, v32
	v_mul_f32_e32 v71, v93, v33
	v_fma_f32 v33, v92, v33, -v14
	v_mul_f32_e32 v14, v95, v30
	v_fma_f32 v73, v94, v31, -v14
	;; [unrolled: 12-line block ×3, first 2 shown]
	v_mul_f32_e32 v14, v105, v46
	v_fma_f32 v81, v104, v47, -v14
	s_waitcnt lgkmcnt(2)
	v_mul_f32_e32 v14, v107, v52
	v_fmac_f32_e32 v64, v82, v16
	v_mul_f32_e32 v82, v107, v53
	v_fma_f32 v53, v106, v53, -v14
	s_waitcnt lgkmcnt(1)
	v_mul_f32_e32 v14, v109, v56
	v_mul_f32_e32 v83, v109, v57
	v_fma_f32 v57, v108, v57, -v14
	v_mul_f32_e32 v14, v111, v54
	v_fma_f32 v85, v110, v55, -v14
	v_mul_f32_e32 v14, v113, v58
	v_mul_f32_e32 v66, v87, v19
	;; [unrolled: 1-line block ×3, first 2 shown]
	v_fma_f32 v87, v112, v59, -v14
	s_waitcnt lgkmcnt(0)
	v_mul_f32_e32 v14, v115, v60
	v_add_f32_e32 v15, v62, v64
	v_fmac_f32_e32 v68, v88, v22
	v_mul_f32_e32 v88, v115, v61
	v_fma_f32 v61, v114, v61, -v14
	v_add_f32_e32 v14, v0, v62
	v_fma_f32 v0, -0.5, v15, v0
	v_sub_f32_e32 v15, v63, v17
	v_mov_b32_e32 v16, v0
	v_fmac_f32_e32 v16, 0xbf5db3d7, v15
	v_fmac_f32_e32 v0, 0x3f5db3d7, v15
	v_add_f32_e32 v15, v1, v63
	v_add_f32_e32 v15, v15, v17
	;; [unrolled: 1-line block ×3, first 2 shown]
	v_fmac_f32_e32 v65, v84, v20
	v_fmac_f32_e32 v66, v86, v18
	v_fma_f32 v1, -0.5, v17, v1
	v_sub_f32_e32 v18, v62, v64
	v_mov_b32_e32 v17, v1
	v_add_f32_e32 v19, v65, v66
	v_fmac_f32_e32 v17, 0x3f5db3d7, v18
	v_fmac_f32_e32 v1, 0xbf5db3d7, v18
	v_add_f32_e32 v18, v2, v65
	v_fma_f32 v2, -0.5, v19, v2
	v_sub_f32_e32 v19, v21, v67
	v_mov_b32_e32 v20, v2
	v_fmac_f32_e32 v20, 0xbf5db3d7, v19
	v_fmac_f32_e32 v2, 0x3f5db3d7, v19
	v_add_f32_e32 v19, v3, v21
	v_add_f32_e32 v21, v21, v67
	v_fmac_f32_e32 v70, v90, v28
	v_fmac_f32_e32 v3, -0.5, v21
	v_sub_f32_e32 v22, v65, v66
	v_mov_b32_e32 v21, v3
	v_add_f32_e32 v23, v68, v70
	v_fmac_f32_e32 v21, 0x3f5db3d7, v22
	v_fmac_f32_e32 v3, 0xbf5db3d7, v22
	v_add_f32_e32 v22, v24, v68
	v_fma_f32 v24, -0.5, v23, v24
	v_sub_f32_e32 v23, v69, v29
	v_mov_b32_e32 v28, v24
	v_fmac_f32_e32 v28, 0xbf5db3d7, v23
	v_fmac_f32_e32 v24, 0x3f5db3d7, v23
	v_add_f32_e32 v23, v25, v69
	v_mul_f32_e32 v72, v95, v31
	v_add_f32_e32 v23, v23, v29
	v_add_f32_e32 v29, v69, v29
	v_fmac_f32_e32 v71, v92, v32
	v_fmac_f32_e32 v72, v94, v30
	v_fma_f32 v25, -0.5, v29, v25
	v_sub_f32_e32 v30, v68, v70
	v_mov_b32_e32 v29, v25
	v_add_f32_e32 v31, v71, v72
	v_fmac_f32_e32 v29, 0x3f5db3d7, v30
	v_fmac_f32_e32 v25, 0xbf5db3d7, v30
	v_add_f32_e32 v30, v26, v71
	v_fma_f32 v26, -0.5, v31, v26
	v_sub_f32_e32 v31, v33, v73
	v_mov_b32_e32 v32, v26
	v_mul_f32_e32 v74, v97, v35
	v_fmac_f32_e32 v32, 0xbf5db3d7, v31
	v_fmac_f32_e32 v26, 0x3f5db3d7, v31
	v_add_f32_e32 v31, v27, v33
	v_add_f32_e32 v33, v33, v73
	v_fmac_f32_e32 v74, v96, v34
	v_fmac_f32_e32 v76, v98, v40
	v_fmac_f32_e32 v27, -0.5, v33
	v_sub_f32_e32 v34, v71, v72
	v_mov_b32_e32 v33, v27
	v_add_f32_e32 v35, v74, v76
	v_fmac_f32_e32 v33, 0x3f5db3d7, v34
	v_fmac_f32_e32 v27, 0xbf5db3d7, v34
	v_add_f32_e32 v34, v36, v74
	v_fma_f32 v36, -0.5, v35, v36
	v_sub_f32_e32 v35, v75, v41
	v_mov_b32_e32 v40, v36
	v_fmac_f32_e32 v40, 0xbf5db3d7, v35
	v_fmac_f32_e32 v36, 0x3f5db3d7, v35
	v_add_f32_e32 v35, v37, v75
	v_mul_f32_e32 v78, v103, v43
	v_add_f32_e32 v35, v35, v41
	v_add_f32_e32 v41, v75, v41
	v_fmac_f32_e32 v77, v100, v44
	v_fmac_f32_e32 v78, v102, v42
	v_fma_f32 v37, -0.5, v41, v37
	v_sub_f32_e32 v42, v74, v76
	v_mov_b32_e32 v41, v37
	v_add_f32_e32 v43, v77, v78
	v_fmac_f32_e32 v41, 0x3f5db3d7, v42
	v_fmac_f32_e32 v37, 0xbf5db3d7, v42
	v_add_f32_e32 v42, v38, v77
	v_fma_f32 v38, -0.5, v43, v38
	v_sub_f32_e32 v43, v45, v79
	v_mov_b32_e32 v44, v38
	v_mul_f32_e32 v80, v105, v47
	v_fmac_f32_e32 v44, 0xbf5db3d7, v43
	v_fmac_f32_e32 v38, 0x3f5db3d7, v43
	v_add_f32_e32 v43, v39, v45
	v_add_f32_e32 v45, v45, v79
	v_fmac_f32_e32 v80, v104, v46
	;; [unrolled: 35-line block ×3, first 2 shown]
	v_fmac_f32_e32 v88, v114, v60
	v_fmac_f32_e32 v51, -0.5, v57
	v_sub_f32_e32 v58, v83, v84
	v_mov_b32_e32 v57, v51
	v_add_f32_e32 v59, v86, v88
	v_fmac_f32_e32 v57, 0x3f5db3d7, v58
	v_fmac_f32_e32 v51, 0xbf5db3d7, v58
	v_add_f32_e32 v58, v12, v86
	v_fma_f32 v12, -0.5, v59, v12
	v_sub_f32_e32 v59, v87, v61
	v_mov_b32_e32 v60, v12
	v_fmac_f32_e32 v60, 0xbf5db3d7, v59
	v_fmac_f32_e32 v12, 0x3f5db3d7, v59
	v_add_f32_e32 v59, v13, v87
	v_add_f32_e32 v59, v59, v61
	v_add_f32_e32 v61, v87, v61
	v_fmac_f32_e32 v13, -0.5, v61
	v_add_f32_e32 v14, v14, v64
	v_add_f32_e32 v18, v18, v66
	;; [unrolled: 1-line block ×3, first 2 shown]
	v_sub_f32_e32 v62, v86, v88
	v_mov_b32_e32 v61, v13
	v_add_f32_e32 v22, v22, v70
	v_add_f32_e32 v30, v30, v72
	;; [unrolled: 1-line block ×10, first 2 shown]
	v_fmac_f32_e32 v61, 0x3f5db3d7, v62
	v_fmac_f32_e32 v13, 0xbf5db3d7, v62
	ds_write2_b64 v213, v[14:15], v[18:19] offset1:51
	ds_write2_b64 v8, v[0:1], v[2:3] offset0:150 offset1:201
	ds_write2_b64 v11, v[20:21], v[28:29] offset0:126 offset1:177
	;; [unrolled: 1-line block ×12, first 2 shown]
	ds_write_b64 v213, v[12:13] offset:10608
	s_waitcnt lgkmcnt(0)
	; wave barrier
	s_waitcnt lgkmcnt(0)
	ds_read2_b64 v[0:3], v213 offset1:81
	buffer_load_dword v15, off, s[24:27], 0 offset:144 ; 4-byte Folded Reload
	buffer_load_dword v16, off, s[24:27], 0 offset:148 ; 4-byte Folded Reload
	v_mad_u64_u32 v[12:13], s[2:3], s11, v166, v[5:6]
	s_mov_b32 s2, 0xdee863a6
	s_mov_b32 s3, 0x3f47cbf1
	s_movk_i32 s11, 0x1000
	s_movk_i32 s10, 0x2000
	s_waitcnt vmcnt(0) lgkmcnt(0)
	v_mul_f32_e32 v5, v16, v1
	v_fmac_f32_e32 v5, v15, v0
	v_cvt_f64_f32_e32 v[13:14], v5
	v_mul_f32_e32 v0, v16, v0
	v_fma_f32 v0, v15, v1, -v0
	v_mad_u64_u32 v[15:16], s[4:5], s8, v207, 0
	v_mul_f64 v[13:14], v[13:14], s[2:3]
	v_mov_b32_e32 v5, v12
	v_mov_b32_e32 v12, v16
	v_cvt_f64_f32_e32 v[0:1], v0
	v_mul_f64 v[0:1], v[0:1], s[2:3]
	v_mad_u64_u32 v[16:17], s[4:5], s9, v207, v[12:13]
	buffer_load_dword v17, off, s[24:27], 0 offset:136 ; 4-byte Folded Reload
	buffer_load_dword v18, off, s[24:27], 0 offset:140 ; 4-byte Folded Reload
	v_cvt_f32_f64_e32 v12, v[13:14]
	v_mov_b32_e32 v14, s7
	s_mul_i32 s4, s9, 0x51
	s_mul_hi_u32 s5, s8, 0x51
	v_cvt_f32_f64_e32 v13, v[0:1]
	v_lshlrev_b64 v[0:1], 3, v[4:5]
	s_add_i32 s5, s5, s4
	s_mul_i32 s4, s8, 0x51
	s_lshl_b64 s[4:5], s[4:5], 3
	v_mov_b32_e32 v20, s5
	s_waitcnt vmcnt(0)
	v_mul_f32_e32 v4, v18, v3
	v_fmac_f32_e32 v4, v17, v2
	v_cvt_f64_f32_e32 v[4:5], v4
	v_mul_f32_e32 v2, v18, v2
	v_fma_f32 v2, v17, v3, -v2
	v_add_co_u32_e32 v17, vcc, s6, v0
	v_addc_co_u32_e32 v18, vcc, v14, v1, vcc
	v_mul_f64 v[0:1], v[4:5], s[2:3]
	v_lshlrev_b64 v[4:5], 3, v[15:16]
	v_cvt_f64_f32_e32 v[2:3], v2
	v_add_co_u32_e32 v4, vcc, v17, v4
	v_addc_co_u32_e32 v5, vcc, v18, v5, vcc
	global_store_dwordx2 v[4:5], v[12:13], off
	v_mul_f64 v[14:15], v[2:3], s[2:3]
	v_cvt_f32_f64_e32 v12, v[0:1]
	ds_read2_b64 v[0:3], v213 offset0:162 offset1:243
	buffer_load_dword v16, off, s[24:27], 0 offset:128 ; 4-byte Folded Reload
	buffer_load_dword v17, off, s[24:27], 0 offset:132 ; 4-byte Folded Reload
	v_add_co_u32_e32 v4, vcc, s4, v4
	v_addc_co_u32_e32 v5, vcc, v5, v20, vcc
	v_cvt_f32_f64_e32 v13, v[14:15]
	global_store_dwordx2 v[4:5], v[12:13], off
	v_add_co_u32_e32 v4, vcc, s4, v4
	v_addc_co_u32_e32 v5, vcc, v5, v20, vcc
	s_waitcnt vmcnt(1) lgkmcnt(0)
	v_mul_f32_e32 v14, v17, v1
	v_fmac_f32_e32 v14, v16, v0
	v_mul_f32_e32 v0, v17, v0
	v_fma_f32 v0, v16, v1, -v0
	buffer_load_dword v16, off, s[24:27], 0 offset:104 ; 4-byte Folded Reload
	buffer_load_dword v17, off, s[24:27], 0 offset:108 ; 4-byte Folded Reload
	v_cvt_f64_f32_e32 v[0:1], v0
	v_cvt_f64_f32_e32 v[14:15], v14
	v_mul_f64 v[0:1], v[0:1], s[2:3]
	v_mul_f64 v[14:15], v[14:15], s[2:3]
	v_cvt_f32_f64_e32 v13, v[0:1]
	v_cvt_f32_f64_e32 v12, v[14:15]
	s_waitcnt vmcnt(0)
	v_mul_f32_e32 v0, v17, v3
	v_fmac_f32_e32 v0, v16, v2
	v_cvt_f64_f32_e32 v[14:15], v0
	v_mul_f32_e32 v0, v17, v2
	v_fma_f32 v0, v16, v3, -v0
	v_cvt_f64_f32_e32 v[16:17], v0
	ds_read2_b64 v[0:3], v10 offset0:68 offset1:149
	buffer_load_dword v21, off, s[24:27], 0 offset:120 ; 4-byte Folded Reload
	buffer_load_dword v22, off, s[24:27], 0 offset:124 ; 4-byte Folded Reload
	v_mul_f64 v[14:15], v[14:15], s[2:3]
	v_mul_f64 v[16:17], v[16:17], s[2:3]
	global_store_dwordx2 v[4:5], v[12:13], off
	v_add_co_u32_e32 v4, vcc, s4, v4
	v_addc_co_u32_e32 v5, vcc, v5, v20, vcc
	v_cvt_f32_f64_e32 v12, v[14:15]
	v_cvt_f32_f64_e32 v13, v[16:17]
	global_store_dwordx2 v[4:5], v[12:13], off
	buffer_load_dword v16, off, s[24:27], 0 offset:96 ; 4-byte Folded Reload
	buffer_load_dword v17, off, s[24:27], 0 offset:100 ; 4-byte Folded Reload
	v_add_co_u32_e32 v4, vcc, s4, v4
	v_addc_co_u32_e32 v5, vcc, v5, v20, vcc
	s_waitcnt vmcnt(4) lgkmcnt(0)
	v_mul_f32_e32 v18, v22, v1
	v_fmac_f32_e32 v18, v21, v0
	v_mul_f32_e32 v0, v22, v0
	v_fma_f32 v0, v21, v1, -v0
	v_cvt_f64_f32_e32 v[0:1], v0
	v_cvt_f64_f32_e32 v[18:19], v18
	v_mul_f64 v[0:1], v[0:1], s[2:3]
	v_mul_f64 v[14:15], v[18:19], s[2:3]
	v_cvt_f32_f64_e32 v13, v[0:1]
	s_waitcnt vmcnt(0)
	v_mul_f32_e32 v0, v17, v3
	v_fmac_f32_e32 v0, v16, v2
	v_cvt_f32_f64_e32 v12, v[14:15]
	v_cvt_f64_f32_e32 v[14:15], v0
	v_mul_f32_e32 v0, v17, v2
	v_fma_f32 v0, v16, v3, -v0
	v_cvt_f64_f32_e32 v[16:17], v0
	ds_read2_b64 v[0:3], v11 offset0:102 offset1:183
	buffer_load_dword v21, off, s[24:27], 0 offset:80 ; 4-byte Folded Reload
	buffer_load_dword v22, off, s[24:27], 0 offset:84 ; 4-byte Folded Reload
	v_mul_f64 v[14:15], v[14:15], s[2:3]
	v_mul_f64 v[16:17], v[16:17], s[2:3]
	global_store_dwordx2 v[4:5], v[12:13], off
	v_add_co_u32_e32 v4, vcc, s4, v4
	v_addc_co_u32_e32 v5, vcc, v5, v20, vcc
	v_cvt_f32_f64_e32 v12, v[16:17]
	s_waitcnt vmcnt(1) lgkmcnt(0)
	v_mul_f32_e32 v11, v22, v1
	v_fmac_f32_e32 v11, v21, v0
	v_cvt_f64_f32_e32 v[18:19], v11
	v_cvt_f32_f64_e32 v11, v[14:15]
	v_mul_f32_e32 v0, v22, v0
	v_fma_f32 v0, v21, v1, -v0
	v_cvt_f64_f32_e32 v[0:1], v0
	global_store_dwordx2 v[4:5], v[11:12], off
	buffer_load_dword v15, off, s[24:27], 0 offset:72 ; 4-byte Folded Reload
	buffer_load_dword v16, off, s[24:27], 0 offset:76 ; 4-byte Folded Reload
	v_mul_f64 v[13:14], v[18:19], s[2:3]
	v_mul_f64 v[0:1], v[0:1], s[2:3]
	v_add_co_u32_e32 v4, vcc, s4, v4
	v_addc_co_u32_e32 v5, vcc, v5, v20, vcc
	v_cvt_f32_f64_e32 v11, v[13:14]
	v_cvt_f32_f64_e32 v12, v[0:1]
	s_waitcnt vmcnt(0)
	v_mul_f32_e32 v0, v16, v3
	v_fmac_f32_e32 v0, v15, v2
	v_cvt_f64_f32_e32 v[13:14], v0
	v_mul_f32_e32 v0, v16, v2
	v_fma_f32 v0, v15, v3, -v0
	v_cvt_f64_f32_e32 v[15:16], v0
	ds_read2_b64 v[0:3], v9 offset0:136 offset1:217
	buffer_load_dword v21, off, s[24:27], 0 offset:88 ; 4-byte Folded Reload
	buffer_load_dword v22, off, s[24:27], 0 offset:92 ; 4-byte Folded Reload
	v_mul_f64 v[13:14], v[13:14], s[2:3]
	v_mul_f64 v[15:16], v[15:16], s[2:3]
	global_store_dwordx2 v[4:5], v[11:12], off
	v_add_co_u32_e32 v4, vcc, s4, v4
	v_addc_co_u32_e32 v5, vcc, v5, v20, vcc
	v_cvt_f32_f64_e32 v11, v[13:14]
	v_cvt_f32_f64_e32 v12, v[15:16]
	global_store_dwordx2 v[4:5], v[11:12], off
	buffer_load_dword v15, off, s[24:27], 0 offset:64 ; 4-byte Folded Reload
	buffer_load_dword v16, off, s[24:27], 0 offset:68 ; 4-byte Folded Reload
	v_add_co_u32_e32 v4, vcc, s4, v4
	v_addc_co_u32_e32 v5, vcc, v5, v20, vcc
	s_waitcnt vmcnt(4) lgkmcnt(0)
	v_mul_f32_e32 v17, v22, v1
	v_fmac_f32_e32 v17, v21, v0
	v_mul_f32_e32 v0, v22, v0
	v_fma_f32 v0, v21, v1, -v0
	v_cvt_f64_f32_e32 v[0:1], v0
	v_cvt_f64_f32_e32 v[17:18], v17
	v_mul_f64 v[0:1], v[0:1], s[2:3]
	v_mul_f64 v[13:14], v[17:18], s[2:3]
	v_cvt_f32_f64_e32 v12, v[0:1]
	s_waitcnt vmcnt(0)
	v_mul_f32_e32 v0, v16, v3
	v_fmac_f32_e32 v0, v15, v2
	v_cvt_f32_f64_e32 v11, v[13:14]
	v_cvt_f64_f32_e32 v[13:14], v0
	v_mul_f32_e32 v0, v16, v2
	v_fma_f32 v0, v15, v3, -v0
	v_cvt_f64_f32_e32 v[15:16], v0
	ds_read2_b64 v[0:3], v8 offset0:42 offset1:123
	buffer_load_dword v21, off, s[24:27], 0 offset:48 ; 4-byte Folded Reload
	buffer_load_dword v22, off, s[24:27], 0 offset:52 ; 4-byte Folded Reload
	v_mul_f64 v[13:14], v[13:14], s[2:3]
	v_mul_f64 v[15:16], v[15:16], s[2:3]
	global_store_dwordx2 v[4:5], v[11:12], off
	v_add_co_u32_e32 v4, vcc, s4, v4
	v_addc_co_u32_e32 v5, vcc, v5, v20, vcc
	v_cvt_f32_f64_e32 v11, v[13:14]
	v_cvt_f32_f64_e32 v12, v[15:16]
	global_store_dwordx2 v[4:5], v[11:12], off
	buffer_load_dword v15, off, s[24:27], 0 offset:56 ; 4-byte Folded Reload
	buffer_load_dword v16, off, s[24:27], 0 offset:60 ; 4-byte Folded Reload
	v_add_co_u32_e32 v4, vcc, s4, v4
	v_addc_co_u32_e32 v5, vcc, v5, v20, vcc
	s_waitcnt vmcnt(4) lgkmcnt(0)
	v_mul_f32_e32 v17, v22, v1
	v_fmac_f32_e32 v17, v21, v0
	v_mul_f32_e32 v0, v22, v0
	v_fma_f32 v0, v21, v1, -v0
	v_cvt_f64_f32_e32 v[0:1], v0
	v_cvt_f64_f32_e32 v[17:18], v17
	v_mul_f64 v[0:1], v[0:1], s[2:3]
	v_mul_f64 v[13:14], v[17:18], s[2:3]
	v_cvt_f32_f64_e32 v12, v[0:1]
	s_waitcnt vmcnt(0)
	v_mul_f32_e32 v0, v16, v3
	v_fmac_f32_e32 v0, v15, v2
	v_cvt_f32_f64_e32 v11, v[13:14]
	v_cvt_f64_f32_e32 v[13:14], v0
	v_mul_f32_e32 v0, v16, v2
	v_fma_f32 v0, v15, v3, -v0
	v_cvt_f64_f32_e32 v[15:16], v0
	ds_read2_b64 v[0:3], v7 offset0:76 offset1:157
	buffer_load_dword v21, off, s[24:27], 0 offset:40 ; 4-byte Folded Reload
	buffer_load_dword v22, off, s[24:27], 0 offset:44 ; 4-byte Folded Reload
	v_mul_f64 v[13:14], v[13:14], s[2:3]
	v_mul_f64 v[15:16], v[15:16], s[2:3]
	global_store_dwordx2 v[4:5], v[11:12], off
	v_add_co_u32_e32 v4, vcc, s4, v4
	v_addc_co_u32_e32 v5, vcc, v5, v20, vcc
	v_cvt_f32_f64_e32 v11, v[13:14]
	v_cvt_f32_f64_e32 v12, v[15:16]
	global_store_dwordx2 v[4:5], v[11:12], off
	v_add_co_u32_e32 v4, vcc, s4, v4
	v_addc_co_u32_e32 v5, vcc, v5, v20, vcc
	s_waitcnt vmcnt(2) lgkmcnt(0)
	v_mul_f32_e32 v17, v22, v1
	v_fmac_f32_e32 v17, v21, v0
	v_mul_f32_e32 v0, v22, v0
	v_fma_f32 v0, v21, v1, -v0
	v_cvt_f64_f32_e32 v[0:1], v0
	v_cvt_f64_f32_e32 v[17:18], v17
	v_mul_f64 v[0:1], v[0:1], s[2:3]
	v_mul_f64 v[13:14], v[17:18], s[2:3]
	v_cvt_f32_f64_e32 v12, v[0:1]
	v_mul_f32_e32 v0, v248, v3
	v_fmac_f32_e32 v0, v247, v2
	v_cvt_f32_f64_e32 v11, v[13:14]
	v_cvt_f64_f32_e32 v[13:14], v0
	v_mul_f32_e32 v0, v248, v2
	v_fma_f32 v0, v247, v3, -v0
	v_cvt_f64_f32_e32 v[15:16], v0
	ds_read2_b64 v[0:3], v6 offset0:110 offset1:191
	v_mul_f64 v[13:14], v[13:14], s[2:3]
	global_store_dwordx2 v[4:5], v[11:12], off
	v_mul_f64 v[15:16], v[15:16], s[2:3]
	v_add_co_u32_e32 v4, vcc, s4, v4
	s_waitcnt lgkmcnt(0)
	v_mul_f32_e32 v17, v246, v1
	v_fmac_f32_e32 v17, v245, v0
	v_cvt_f64_f32_e32 v[17:18], v17
	v_cvt_f32_f64_e32 v11, v[13:14]
	v_addc_co_u32_e32 v5, vcc, v5, v20, vcc
	v_mul_f64 v[13:14], v[17:18], s[2:3]
	v_cvt_f32_f64_e32 v12, v[15:16]
	v_mul_f32_e32 v0, v246, v0
	v_fma_f32 v0, v245, v1, -v0
	v_cvt_f64_f32_e32 v[0:1], v0
	global_store_dwordx2 v[4:5], v[11:12], off
	v_add_co_u32_e32 v4, vcc, s4, v4
	v_cvt_f32_f64_e32 v11, v[13:14]
	ds_read_b64 v[13:14], v213 offset:10368
	buffer_load_dword v17, off, s[24:27], 0 offset:32 ; 4-byte Folded Reload
	buffer_load_dword v18, off, s[24:27], 0 offset:36 ; 4-byte Folded Reload
	v_mul_f64 v[0:1], v[0:1], s[2:3]
	v_addc_co_u32_e32 v5, vcc, v5, v20, vcc
	v_cvt_f32_f64_e32 v12, v[0:1]
	v_mul_f32_e32 v0, v244, v3
	v_fmac_f32_e32 v0, v243, v2
	v_mul_f32_e32 v2, v244, v2
	v_fma_f32 v2, v243, v3, -v2
	v_cvt_f64_f32_e32 v[0:1], v0
	v_cvt_f64_f32_e32 v[2:3], v2
	global_store_dwordx2 v[4:5], v[11:12], off
	v_mul_f64 v[0:1], v[0:1], s[2:3]
	v_mul_f64 v[2:3], v[2:3], s[2:3]
	v_cvt_f32_f64_e32 v0, v[0:1]
	v_cvt_f32_f64_e32 v1, v[2:3]
	v_add_co_u32_e32 v2, vcc, s4, v4
	v_addc_co_u32_e32 v3, vcc, v5, v20, vcc
	global_store_dwordx2 v[2:3], v[0:1], off
	v_add_co_u32_e32 v0, vcc, s4, v2
	v_addc_co_u32_e32 v1, vcc, v3, v20, vcc
	s_waitcnt vmcnt(2) lgkmcnt(0)
	v_mul_f32_e32 v15, v18, v14
	v_fmac_f32_e32 v15, v17, v13
	v_mul_f32_e32 v13, v18, v13
	v_fma_f32 v13, v17, v14, -v13
	v_cvt_f64_f32_e32 v[15:16], v15
	v_cvt_f64_f32_e32 v[13:14], v13
	v_mul_f64 v[11:12], v[15:16], s[2:3]
	v_mul_f64 v[13:14], v[13:14], s[2:3]
	v_cvt_f32_f64_e32 v4, v[11:12]
	v_cvt_f32_f64_e32 v5, v[13:14]
	global_store_dwordx2 v[0:1], v[4:5], off
	s_and_b64 exec, exec, s[0:1]
	s_cbranch_execz .LBB0_15
; %bb.14:
	global_load_dwordx2 v[11:12], v[208:209], off offset:408
	ds_read2_b64 v[2:5], v213 offset0:51 offset1:132
	v_mov_b32_e32 v14, s5
	s_waitcnt vmcnt(0) lgkmcnt(0)
	v_mul_f32_e32 v13, v3, v12
	v_mul_f32_e32 v12, v2, v12
	v_fmac_f32_e32 v13, v2, v11
	v_fma_f32 v11, v11, v3, -v12
	v_cvt_f64_f32_e32 v[2:3], v13
	v_cvt_f64_f32_e32 v[11:12], v11
	v_mov_b32_e32 v13, 0xffffd918
	v_mad_u64_u32 v[0:1], s[0:1], s8, v13, v[0:1]
	v_mul_f64 v[2:3], v[2:3], s[2:3]
	v_mul_f64 v[11:12], v[11:12], s[2:3]
	s_mul_i32 s0, s9, 0xffffd918
	s_sub_i32 s0, s0, s8
	v_add_u32_e32 v1, s0, v1
	v_cvt_f32_f64_e32 v2, v[2:3]
	v_cvt_f32_f64_e32 v3, v[11:12]
	global_store_dwordx2 v[0:1], v[2:3], off
	global_load_dwordx2 v[2:3], v[208:209], off offset:1056
	s_waitcnt vmcnt(0)
	v_mul_f32_e32 v11, v5, v3
	v_mul_f32_e32 v3, v4, v3
	v_fmac_f32_e32 v11, v4, v2
	v_fma_f32 v4, v2, v5, -v3
	v_cvt_f64_f32_e32 v[2:3], v11
	v_cvt_f64_f32_e32 v[4:5], v4
	v_mul_f64 v[2:3], v[2:3], s[2:3]
	v_mul_f64 v[4:5], v[4:5], s[2:3]
	v_cvt_f32_f64_e32 v2, v[2:3]
	v_cvt_f32_f64_e32 v3, v[4:5]
	v_add_co_u32_e32 v4, vcc, s4, v0
	v_addc_co_u32_e32 v5, vcc, v1, v14, vcc
	global_store_dwordx2 v[4:5], v[2:3], off
	global_load_dwordx2 v[11:12], v[208:209], off offset:1704
	v_add_u32_e32 v0, 0x400, v213
	ds_read2_b64 v[0:3], v0 offset0:85 offset1:166
	v_add_co_u32_e32 v4, vcc, s4, v4
	v_addc_co_u32_e32 v5, vcc, v5, v14, vcc
	s_waitcnt vmcnt(0) lgkmcnt(0)
	v_mul_f32_e32 v13, v1, v12
	v_mul_f32_e32 v12, v0, v12
	v_fmac_f32_e32 v13, v0, v11
	v_fma_f32 v11, v11, v1, -v12
	v_cvt_f64_f32_e32 v[0:1], v13
	v_cvt_f64_f32_e32 v[11:12], v11
	v_mul_f64 v[0:1], v[0:1], s[2:3]
	v_mul_f64 v[11:12], v[11:12], s[2:3]
	v_cvt_f32_f64_e32 v0, v[0:1]
	v_cvt_f32_f64_e32 v1, v[11:12]
	global_store_dwordx2 v[4:5], v[0:1], off
	global_load_dwordx2 v[0:1], v[208:209], off offset:2352
	v_add_co_u32_e32 v4, vcc, s4, v4
	v_addc_co_u32_e32 v5, vcc, v5, v14, vcc
	s_waitcnt vmcnt(0)
	v_mul_f32_e32 v11, v3, v1
	v_mul_f32_e32 v1, v2, v1
	v_fmac_f32_e32 v11, v2, v0
	v_fma_f32 v2, v0, v3, -v1
	v_cvt_f64_f32_e32 v[0:1], v11
	v_cvt_f64_f32_e32 v[2:3], v2
	v_mul_f64 v[0:1], v[0:1], s[2:3]
	v_mul_f64 v[2:3], v[2:3], s[2:3]
	v_cvt_f32_f64_e32 v0, v[0:1]
	v_cvt_f32_f64_e32 v1, v[2:3]
	global_store_dwordx2 v[4:5], v[0:1], off
	global_load_dwordx2 v[11:12], v[208:209], off offset:3000
	ds_read2_b64 v[0:3], v10 offset0:119 offset1:200
	v_add_co_u32_e32 v4, vcc, s4, v4
	v_addc_co_u32_e32 v5, vcc, v5, v14, vcc
	s_waitcnt vmcnt(0) lgkmcnt(0)
	v_mul_f32_e32 v10, v1, v12
	v_mul_f32_e32 v12, v0, v12
	v_fmac_f32_e32 v10, v0, v11
	v_fma_f32 v11, v11, v1, -v12
	v_cvt_f64_f32_e32 v[0:1], v10
	v_cvt_f64_f32_e32 v[10:11], v11
	v_mul_f64 v[0:1], v[0:1], s[2:3]
	v_mul_f64 v[10:11], v[10:11], s[2:3]
	v_cvt_f32_f64_e32 v0, v[0:1]
	v_cvt_f32_f64_e32 v1, v[10:11]
	global_store_dwordx2 v[4:5], v[0:1], off
	global_load_dwordx2 v[0:1], v[208:209], off offset:3648
	s_waitcnt vmcnt(0)
	v_mul_f32_e32 v10, v3, v1
	v_mul_f32_e32 v1, v2, v1
	v_fmac_f32_e32 v10, v2, v0
	v_fma_f32 v2, v0, v3, -v1
	v_cvt_f64_f32_e32 v[0:1], v10
	v_cvt_f64_f32_e32 v[2:3], v2
	v_add_co_u32_e32 v10, vcc, s11, v208
	v_mul_f64 v[0:1], v[0:1], s[2:3]
	v_mul_f64 v[2:3], v[2:3], s[2:3]
	v_addc_co_u32_e32 v11, vcc, 0, v209, vcc
	v_add_co_u32_e32 v4, vcc, s4, v4
	v_addc_co_u32_e32 v5, vcc, v5, v14, vcc
	v_cvt_f32_f64_e32 v0, v[0:1]
	v_cvt_f32_f64_e32 v1, v[2:3]
	global_store_dwordx2 v[4:5], v[0:1], off
	global_load_dwordx2 v[12:13], v[10:11], off offset:200
	ds_read2_b64 v[0:3], v9 offset0:25 offset1:106
	v_add_co_u32_e32 v4, vcc, s4, v4
	v_addc_co_u32_e32 v5, vcc, v5, v14, vcc
	s_waitcnt vmcnt(0) lgkmcnt(0)
	v_mul_f32_e32 v9, v1, v13
	v_mul_f32_e32 v13, v0, v13
	v_fmac_f32_e32 v9, v0, v12
	v_fma_f32 v12, v12, v1, -v13
	v_cvt_f64_f32_e32 v[0:1], v9
	v_cvt_f64_f32_e32 v[12:13], v12
	v_mul_f64 v[0:1], v[0:1], s[2:3]
	v_mul_f64 v[12:13], v[12:13], s[2:3]
	v_cvt_f32_f64_e32 v0, v[0:1]
	v_cvt_f32_f64_e32 v1, v[12:13]
	global_store_dwordx2 v[4:5], v[0:1], off
	global_load_dwordx2 v[0:1], v[10:11], off offset:848
	v_add_co_u32_e32 v4, vcc, s4, v4
	v_addc_co_u32_e32 v5, vcc, v5, v14, vcc
	s_waitcnt vmcnt(0)
	v_mul_f32_e32 v9, v3, v1
	v_mul_f32_e32 v1, v2, v1
	v_fmac_f32_e32 v9, v2, v0
	v_fma_f32 v2, v0, v3, -v1
	v_cvt_f64_f32_e32 v[0:1], v9
	v_cvt_f64_f32_e32 v[2:3], v2
	v_mul_f64 v[0:1], v[0:1], s[2:3]
	v_mul_f64 v[2:3], v[2:3], s[2:3]
	v_cvt_f32_f64_e32 v0, v[0:1]
	v_cvt_f32_f64_e32 v1, v[2:3]
	global_store_dwordx2 v[4:5], v[0:1], off
	global_load_dwordx2 v[12:13], v[10:11], off offset:1496
	v_add_u32_e32 v0, 0x1400, v213
	ds_read2_b64 v[0:3], v0 offset0:59 offset1:140
	v_add_co_u32_e32 v4, vcc, s4, v4
	v_addc_co_u32_e32 v5, vcc, v5, v14, vcc
	s_waitcnt vmcnt(0) lgkmcnt(0)
	v_mul_f32_e32 v9, v1, v13
	v_mul_f32_e32 v13, v0, v13
	v_fmac_f32_e32 v9, v0, v12
	v_fma_f32 v12, v12, v1, -v13
	v_cvt_f64_f32_e32 v[0:1], v9
	v_cvt_f64_f32_e32 v[12:13], v12
	v_mul_f64 v[0:1], v[0:1], s[2:3]
	v_mul_f64 v[12:13], v[12:13], s[2:3]
	v_cvt_f32_f64_e32 v0, v[0:1]
	v_cvt_f32_f64_e32 v1, v[12:13]
	global_store_dwordx2 v[4:5], v[0:1], off
	global_load_dwordx2 v[0:1], v[10:11], off offset:2144
	v_add_co_u32_e32 v4, vcc, s4, v4
	v_addc_co_u32_e32 v5, vcc, v5, v14, vcc
	s_waitcnt vmcnt(0)
	v_mul_f32_e32 v9, v3, v1
	v_mul_f32_e32 v1, v2, v1
	v_fmac_f32_e32 v9, v2, v0
	v_fma_f32 v2, v0, v3, -v1
	v_cvt_f64_f32_e32 v[0:1], v9
	v_cvt_f64_f32_e32 v[2:3], v2
	v_mul_f64 v[0:1], v[0:1], s[2:3]
	v_mul_f64 v[2:3], v[2:3], s[2:3]
	v_cvt_f32_f64_e32 v0, v[0:1]
	v_cvt_f32_f64_e32 v1, v[2:3]
	global_store_dwordx2 v[4:5], v[0:1], off
	global_load_dwordx2 v[12:13], v[10:11], off offset:2792
	ds_read2_b64 v[0:3], v8 offset0:93 offset1:174
	v_add_co_u32_e32 v4, vcc, s4, v4
	v_addc_co_u32_e32 v5, vcc, v5, v14, vcc
	s_waitcnt vmcnt(0) lgkmcnt(0)
	v_mul_f32_e32 v8, v1, v13
	v_mul_f32_e32 v9, v0, v13
	v_fmac_f32_e32 v8, v0, v12
	v_fma_f32 v9, v12, v1, -v9
	v_cvt_f64_f32_e32 v[0:1], v8
	v_cvt_f64_f32_e32 v[8:9], v9
	v_mul_f64 v[0:1], v[0:1], s[2:3]
	v_mul_f64 v[8:9], v[8:9], s[2:3]
	v_cvt_f32_f64_e32 v0, v[0:1]
	v_cvt_f32_f64_e32 v1, v[8:9]
	global_store_dwordx2 v[4:5], v[0:1], off
	global_load_dwordx2 v[0:1], v[10:11], off offset:3440
	v_add_co_u32_e32 v4, vcc, s4, v4
	v_addc_co_u32_e32 v5, vcc, v5, v14, vcc
	s_waitcnt vmcnt(0)
	v_mul_f32_e32 v8, v3, v1
	v_mul_f32_e32 v1, v2, v1
	v_fmac_f32_e32 v8, v2, v0
	v_fma_f32 v2, v0, v3, -v1
	v_cvt_f64_f32_e32 v[0:1], v8
	v_cvt_f64_f32_e32 v[2:3], v2
	v_mul_f64 v[0:1], v[0:1], s[2:3]
	v_mul_f64 v[2:3], v[2:3], s[2:3]
	v_cvt_f32_f64_e32 v0, v[0:1]
	v_cvt_f32_f64_e32 v1, v[2:3]
	global_store_dwordx2 v[4:5], v[0:1], off
	global_load_dwordx2 v[8:9], v[10:11], off offset:4088
	ds_read2_b64 v[0:3], v7 offset0:127 offset1:208
	s_waitcnt vmcnt(0) lgkmcnt(0)
	v_mul_f32_e32 v7, v1, v9
	v_mul_f32_e32 v9, v0, v9
	v_fmac_f32_e32 v7, v0, v8
	v_fma_f32 v8, v8, v1, -v9
	v_cvt_f64_f32_e32 v[0:1], v7
	v_cvt_f64_f32_e32 v[7:8], v8
	v_add_co_u32_e32 v9, vcc, s10, v208
	v_mul_f64 v[0:1], v[0:1], s[2:3]
	v_mul_f64 v[7:8], v[7:8], s[2:3]
	v_addc_co_u32_e32 v10, vcc, 0, v209, vcc
	v_add_co_u32_e32 v4, vcc, s4, v4
	v_addc_co_u32_e32 v5, vcc, v5, v14, vcc
	v_cvt_f32_f64_e32 v0, v[0:1]
	v_cvt_f32_f64_e32 v1, v[7:8]
	global_store_dwordx2 v[4:5], v[0:1], off
	global_load_dwordx2 v[0:1], v[9:10], off offset:640
	v_add_co_u32_e32 v4, vcc, s4, v4
	v_addc_co_u32_e32 v5, vcc, v5, v14, vcc
	s_waitcnt vmcnt(0)
	v_mul_f32_e32 v7, v3, v1
	v_mul_f32_e32 v1, v2, v1
	v_fmac_f32_e32 v7, v2, v0
	v_fma_f32 v2, v0, v3, -v1
	v_cvt_f64_f32_e32 v[0:1], v7
	v_cvt_f64_f32_e32 v[2:3], v2
	v_mul_f64 v[0:1], v[0:1], s[2:3]
	v_mul_f64 v[2:3], v[2:3], s[2:3]
	v_cvt_f32_f64_e32 v0, v[0:1]
	v_cvt_f32_f64_e32 v1, v[2:3]
	global_store_dwordx2 v[4:5], v[0:1], off
	global_load_dwordx2 v[7:8], v[9:10], off offset:1288
	ds_read2_b64 v[0:3], v6 offset0:161 offset1:242
	v_add_co_u32_e32 v4, vcc, s4, v4
	v_addc_co_u32_e32 v5, vcc, v5, v14, vcc
	s_waitcnt vmcnt(0) lgkmcnt(0)
	v_mul_f32_e32 v6, v1, v8
	v_mul_f32_e32 v8, v0, v8
	v_fmac_f32_e32 v6, v0, v7
	v_fma_f32 v7, v7, v1, -v8
	v_cvt_f64_f32_e32 v[0:1], v6
	v_cvt_f64_f32_e32 v[6:7], v7
	v_mul_f64 v[0:1], v[0:1], s[2:3]
	v_mul_f64 v[6:7], v[6:7], s[2:3]
	v_cvt_f32_f64_e32 v0, v[0:1]
	v_cvt_f32_f64_e32 v1, v[6:7]
	global_store_dwordx2 v[4:5], v[0:1], off
	global_load_dwordx2 v[0:1], v[9:10], off offset:1936
	s_waitcnt vmcnt(0)
	v_mul_f32_e32 v6, v3, v1
	v_mul_f32_e32 v1, v2, v1
	v_fmac_f32_e32 v6, v2, v0
	v_fma_f32 v2, v0, v3, -v1
	v_cvt_f64_f32_e32 v[0:1], v6
	v_cvt_f64_f32_e32 v[2:3], v2
	v_mul_f64 v[0:1], v[0:1], s[2:3]
	v_mul_f64 v[2:3], v[2:3], s[2:3]
	v_cvt_f32_f64_e32 v0, v[0:1]
	v_cvt_f32_f64_e32 v1, v[2:3]
	v_add_co_u32_e32 v2, vcc, s4, v4
	v_addc_co_u32_e32 v3, vcc, v5, v14, vcc
	global_store_dwordx2 v[2:3], v[0:1], off
	global_load_dwordx2 v[0:1], v[9:10], off offset:2584
	ds_read_b64 v[4:5], v213 offset:10776
	v_add_co_u32_e32 v2, vcc, s4, v2
	v_addc_co_u32_e32 v3, vcc, v3, v14, vcc
	s_waitcnt vmcnt(0) lgkmcnt(0)
	v_mul_f32_e32 v6, v5, v1
	v_mul_f32_e32 v1, v4, v1
	v_fmac_f32_e32 v6, v4, v0
	v_fma_f32 v4, v0, v5, -v1
	v_cvt_f64_f32_e32 v[0:1], v6
	v_cvt_f64_f32_e32 v[4:5], v4
	v_mul_f64 v[0:1], v[0:1], s[2:3]
	v_mul_f64 v[4:5], v[4:5], s[2:3]
	v_cvt_f32_f64_e32 v0, v[0:1]
	v_cvt_f32_f64_e32 v1, v[4:5]
	global_store_dwordx2 v[2:3], v[0:1], off
.LBB0_15:
	s_endpgm
	.section	.rodata,"a",@progbits
	.p2align	6, 0x0
	.amdhsa_kernel bluestein_single_fwd_len1377_dim1_sp_op_CI_CI
		.amdhsa_group_segment_fixed_size 11016
		.amdhsa_private_segment_fixed_size 432
		.amdhsa_kernarg_size 104
		.amdhsa_user_sgpr_count 6
		.amdhsa_user_sgpr_private_segment_buffer 1
		.amdhsa_user_sgpr_dispatch_ptr 0
		.amdhsa_user_sgpr_queue_ptr 0
		.amdhsa_user_sgpr_kernarg_segment_ptr 1
		.amdhsa_user_sgpr_dispatch_id 0
		.amdhsa_user_sgpr_flat_scratch_init 0
		.amdhsa_user_sgpr_private_segment_size 0
		.amdhsa_uses_dynamic_stack 0
		.amdhsa_system_sgpr_private_segment_wavefront_offset 1
		.amdhsa_system_sgpr_workgroup_id_x 1
		.amdhsa_system_sgpr_workgroup_id_y 0
		.amdhsa_system_sgpr_workgroup_id_z 0
		.amdhsa_system_sgpr_workgroup_info 0
		.amdhsa_system_vgpr_workitem_id 0
		.amdhsa_next_free_vgpr 256
		.amdhsa_next_free_sgpr 28
		.amdhsa_reserve_vcc 1
		.amdhsa_reserve_flat_scratch 0
		.amdhsa_float_round_mode_32 0
		.amdhsa_float_round_mode_16_64 0
		.amdhsa_float_denorm_mode_32 3
		.amdhsa_float_denorm_mode_16_64 3
		.amdhsa_dx10_clamp 1
		.amdhsa_ieee_mode 1
		.amdhsa_fp16_overflow 0
		.amdhsa_exception_fp_ieee_invalid_op 0
		.amdhsa_exception_fp_denorm_src 0
		.amdhsa_exception_fp_ieee_div_zero 0
		.amdhsa_exception_fp_ieee_overflow 0
		.amdhsa_exception_fp_ieee_underflow 0
		.amdhsa_exception_fp_ieee_inexact 0
		.amdhsa_exception_int_div_zero 0
	.end_amdhsa_kernel
	.text
.Lfunc_end0:
	.size	bluestein_single_fwd_len1377_dim1_sp_op_CI_CI, .Lfunc_end0-bluestein_single_fwd_len1377_dim1_sp_op_CI_CI
                                        ; -- End function
	.section	.AMDGPU.csdata,"",@progbits
; Kernel info:
; codeLenInByte = 41132
; NumSgprs: 32
; NumVgprs: 256
; ScratchSize: 432
; MemoryBound: 0
; FloatMode: 240
; IeeeMode: 1
; LDSByteSize: 11016 bytes/workgroup (compile time only)
; SGPRBlocks: 3
; VGPRBlocks: 63
; NumSGPRsForWavesPerEU: 32
; NumVGPRsForWavesPerEU: 256
; Occupancy: 1
; WaveLimiterHint : 1
; COMPUTE_PGM_RSRC2:SCRATCH_EN: 1
; COMPUTE_PGM_RSRC2:USER_SGPR: 6
; COMPUTE_PGM_RSRC2:TRAP_HANDLER: 0
; COMPUTE_PGM_RSRC2:TGID_X_EN: 1
; COMPUTE_PGM_RSRC2:TGID_Y_EN: 0
; COMPUTE_PGM_RSRC2:TGID_Z_EN: 0
; COMPUTE_PGM_RSRC2:TIDIG_COMP_CNT: 0
	.type	__hip_cuid_f009813a170b0fb4,@object ; @__hip_cuid_f009813a170b0fb4
	.section	.bss,"aw",@nobits
	.globl	__hip_cuid_f009813a170b0fb4
__hip_cuid_f009813a170b0fb4:
	.byte	0                               ; 0x0
	.size	__hip_cuid_f009813a170b0fb4, 1

	.ident	"AMD clang version 19.0.0git (https://github.com/RadeonOpenCompute/llvm-project roc-6.4.0 25133 c7fe45cf4b819c5991fe208aaa96edf142730f1d)"
	.section	".note.GNU-stack","",@progbits
	.addrsig
	.addrsig_sym __hip_cuid_f009813a170b0fb4
	.amdgpu_metadata
---
amdhsa.kernels:
  - .args:
      - .actual_access:  read_only
        .address_space:  global
        .offset:         0
        .size:           8
        .value_kind:     global_buffer
      - .actual_access:  read_only
        .address_space:  global
        .offset:         8
        .size:           8
        .value_kind:     global_buffer
      - .actual_access:  read_only
        .address_space:  global
        .offset:         16
        .size:           8
        .value_kind:     global_buffer
      - .actual_access:  read_only
        .address_space:  global
        .offset:         24
        .size:           8
        .value_kind:     global_buffer
      - .actual_access:  read_only
        .address_space:  global
        .offset:         32
        .size:           8
        .value_kind:     global_buffer
      - .offset:         40
        .size:           8
        .value_kind:     by_value
      - .address_space:  global
        .offset:         48
        .size:           8
        .value_kind:     global_buffer
      - .address_space:  global
        .offset:         56
        .size:           8
        .value_kind:     global_buffer
      - .address_space:  global
        .offset:         64
        .size:           8
        .value_kind:     global_buffer
      - .address_space:  global
        .offset:         72
        .size:           8
        .value_kind:     global_buffer
      - .offset:         80
        .size:           4
        .value_kind:     by_value
      - .address_space:  global
        .offset:         88
        .size:           8
        .value_kind:     global_buffer
      - .address_space:  global
        .offset:         96
        .size:           8
        .value_kind:     global_buffer
    .group_segment_fixed_size: 11016
    .kernarg_segment_align: 8
    .kernarg_segment_size: 104
    .language:       OpenCL C
    .language_version:
      - 2
      - 0
    .max_flat_workgroup_size: 51
    .name:           bluestein_single_fwd_len1377_dim1_sp_op_CI_CI
    .private_segment_fixed_size: 432
    .sgpr_count:     32
    .sgpr_spill_count: 0
    .symbol:         bluestein_single_fwd_len1377_dim1_sp_op_CI_CI.kd
    .uniform_work_group_size: 1
    .uses_dynamic_stack: false
    .vgpr_count:     256
    .vgpr_spill_count: 115
    .wavefront_size: 64
amdhsa.target:   amdgcn-amd-amdhsa--gfx906
amdhsa.version:
  - 1
  - 2
...

	.end_amdgpu_metadata
